;; amdgpu-corpus repo=ROCm/rocFFT kind=compiled arch=gfx1100 opt=O3
	.text
	.amdgcn_target "amdgcn-amd-amdhsa--gfx1100"
	.amdhsa_code_object_version 6
	.protected	fft_rtc_back_len338_factors_13_2_13_wgs_52_tpt_26_halfLds_dp_op_CI_CI_unitstride_sbrr_R2C_dirReg ; -- Begin function fft_rtc_back_len338_factors_13_2_13_wgs_52_tpt_26_halfLds_dp_op_CI_CI_unitstride_sbrr_R2C_dirReg
	.globl	fft_rtc_back_len338_factors_13_2_13_wgs_52_tpt_26_halfLds_dp_op_CI_CI_unitstride_sbrr_R2C_dirReg
	.p2align	8
	.type	fft_rtc_back_len338_factors_13_2_13_wgs_52_tpt_26_halfLds_dp_op_CI_CI_unitstride_sbrr_R2C_dirReg,@function
fft_rtc_back_len338_factors_13_2_13_wgs_52_tpt_26_halfLds_dp_op_CI_CI_unitstride_sbrr_R2C_dirReg: ; @fft_rtc_back_len338_factors_13_2_13_wgs_52_tpt_26_halfLds_dp_op_CI_CI_unitstride_sbrr_R2C_dirReg
; %bb.0:
	s_clause 0x2
	s_load_b128 s[8:11], s[0:1], 0x0
	s_load_b128 s[4:7], s[0:1], 0x58
	;; [unrolled: 1-line block ×3, first 2 shown]
	v_mul_u32_u24_e32 v1, 0x9d9, v0
	v_mov_b32_e32 v3, 0
	s_delay_alu instid0(VALU_DEP_2) | instskip(SKIP_2) | instid1(VALU_DEP_4)
	v_lshrrev_b32_e32 v7, 16, v1
	v_mov_b32_e32 v1, 0
	v_mov_b32_e32 v2, 0
	;; [unrolled: 1-line block ×3, first 2 shown]
	s_delay_alu instid0(VALU_DEP_4) | instskip(SKIP_2) | instid1(VALU_DEP_1)
	v_lshl_add_u32 v5, s15, 1, v7
	s_waitcnt lgkmcnt(0)
	v_cmp_lt_u64_e64 s2, s[10:11], 2
	s_and_b32 vcc_lo, exec_lo, s2
	s_cbranch_vccnz .LBB0_8
; %bb.1:
	s_load_b64 s[2:3], s[0:1], 0x10
	v_mov_b32_e32 v1, 0
	v_mov_b32_e32 v2, 0
	s_add_u32 s12, s18, 8
	s_addc_u32 s13, s19, 0
	s_add_u32 s14, s16, 8
	s_addc_u32 s15, s17, 0
	v_dual_mov_b32 v57, v2 :: v_dual_mov_b32 v56, v1
	s_mov_b64 s[22:23], 1
	s_waitcnt lgkmcnt(0)
	s_add_u32 s20, s2, 8
	s_addc_u32 s21, s3, 0
.LBB0_2:                                ; =>This Inner Loop Header: Depth=1
	s_load_b64 s[24:25], s[20:21], 0x0
                                        ; implicit-def: $vgpr60_vgpr61
	s_mov_b32 s2, exec_lo
	s_waitcnt lgkmcnt(0)
	v_or_b32_e32 v4, s25, v6
	s_delay_alu instid0(VALU_DEP_1)
	v_cmpx_ne_u64_e32 0, v[3:4]
	s_xor_b32 s3, exec_lo, s2
	s_cbranch_execz .LBB0_4
; %bb.3:                                ;   in Loop: Header=BB0_2 Depth=1
	v_cvt_f32_u32_e32 v4, s24
	v_cvt_f32_u32_e32 v8, s25
	s_sub_u32 s2, 0, s24
	s_subb_u32 s26, 0, s25
	s_delay_alu instid0(VALU_DEP_1) | instskip(NEXT) | instid1(VALU_DEP_1)
	v_fmac_f32_e32 v4, 0x4f800000, v8
	v_rcp_f32_e32 v4, v4
	s_waitcnt_depctr 0xfff
	v_mul_f32_e32 v4, 0x5f7ffffc, v4
	s_delay_alu instid0(VALU_DEP_1) | instskip(NEXT) | instid1(VALU_DEP_1)
	v_mul_f32_e32 v8, 0x2f800000, v4
	v_trunc_f32_e32 v8, v8
	s_delay_alu instid0(VALU_DEP_1) | instskip(SKIP_1) | instid1(VALU_DEP_2)
	v_fmac_f32_e32 v4, 0xcf800000, v8
	v_cvt_u32_f32_e32 v8, v8
	v_cvt_u32_f32_e32 v4, v4
	s_delay_alu instid0(VALU_DEP_2) | instskip(NEXT) | instid1(VALU_DEP_2)
	v_mul_lo_u32 v9, s2, v8
	v_mul_hi_u32 v10, s2, v4
	v_mul_lo_u32 v11, s26, v4
	s_delay_alu instid0(VALU_DEP_2) | instskip(SKIP_1) | instid1(VALU_DEP_2)
	v_add_nc_u32_e32 v9, v10, v9
	v_mul_lo_u32 v10, s2, v4
	v_add_nc_u32_e32 v9, v9, v11
	s_delay_alu instid0(VALU_DEP_2) | instskip(NEXT) | instid1(VALU_DEP_2)
	v_mul_hi_u32 v11, v4, v10
	v_mul_lo_u32 v12, v4, v9
	v_mul_hi_u32 v13, v4, v9
	v_mul_hi_u32 v14, v8, v10
	v_mul_lo_u32 v10, v8, v10
	v_mul_hi_u32 v15, v8, v9
	v_mul_lo_u32 v9, v8, v9
	v_add_co_u32 v11, vcc_lo, v11, v12
	v_add_co_ci_u32_e32 v12, vcc_lo, 0, v13, vcc_lo
	s_delay_alu instid0(VALU_DEP_2) | instskip(NEXT) | instid1(VALU_DEP_2)
	v_add_co_u32 v10, vcc_lo, v11, v10
	v_add_co_ci_u32_e32 v10, vcc_lo, v12, v14, vcc_lo
	v_add_co_ci_u32_e32 v11, vcc_lo, 0, v15, vcc_lo
	s_delay_alu instid0(VALU_DEP_2) | instskip(NEXT) | instid1(VALU_DEP_2)
	v_add_co_u32 v9, vcc_lo, v10, v9
	v_add_co_ci_u32_e32 v10, vcc_lo, 0, v11, vcc_lo
	s_delay_alu instid0(VALU_DEP_2) | instskip(NEXT) | instid1(VALU_DEP_2)
	v_add_co_u32 v4, vcc_lo, v4, v9
	v_add_co_ci_u32_e32 v8, vcc_lo, v8, v10, vcc_lo
	s_delay_alu instid0(VALU_DEP_2) | instskip(SKIP_1) | instid1(VALU_DEP_3)
	v_mul_hi_u32 v9, s2, v4
	v_mul_lo_u32 v11, s26, v4
	v_mul_lo_u32 v10, s2, v8
	s_delay_alu instid0(VALU_DEP_1) | instskip(SKIP_1) | instid1(VALU_DEP_2)
	v_add_nc_u32_e32 v9, v9, v10
	v_mul_lo_u32 v10, s2, v4
	v_add_nc_u32_e32 v9, v9, v11
	s_delay_alu instid0(VALU_DEP_2) | instskip(NEXT) | instid1(VALU_DEP_2)
	v_mul_hi_u32 v11, v4, v10
	v_mul_lo_u32 v12, v4, v9
	v_mul_hi_u32 v13, v4, v9
	v_mul_hi_u32 v14, v8, v10
	v_mul_lo_u32 v10, v8, v10
	v_mul_hi_u32 v15, v8, v9
	v_mul_lo_u32 v9, v8, v9
	v_add_co_u32 v11, vcc_lo, v11, v12
	v_add_co_ci_u32_e32 v12, vcc_lo, 0, v13, vcc_lo
	s_delay_alu instid0(VALU_DEP_2) | instskip(NEXT) | instid1(VALU_DEP_2)
	v_add_co_u32 v10, vcc_lo, v11, v10
	v_add_co_ci_u32_e32 v10, vcc_lo, v12, v14, vcc_lo
	v_add_co_ci_u32_e32 v11, vcc_lo, 0, v15, vcc_lo
	s_delay_alu instid0(VALU_DEP_2) | instskip(NEXT) | instid1(VALU_DEP_2)
	v_add_co_u32 v9, vcc_lo, v10, v9
	v_add_co_ci_u32_e32 v10, vcc_lo, 0, v11, vcc_lo
	s_delay_alu instid0(VALU_DEP_2) | instskip(NEXT) | instid1(VALU_DEP_2)
	v_add_co_u32 v4, vcc_lo, v4, v9
	v_add_co_ci_u32_e32 v14, vcc_lo, v8, v10, vcc_lo
	s_delay_alu instid0(VALU_DEP_2) | instskip(SKIP_1) | instid1(VALU_DEP_3)
	v_mul_hi_u32 v15, v5, v4
	v_mad_u64_u32 v[10:11], null, v6, v4, 0
	v_mad_u64_u32 v[8:9], null, v5, v14, 0
	;; [unrolled: 1-line block ×3, first 2 shown]
	s_delay_alu instid0(VALU_DEP_2) | instskip(NEXT) | instid1(VALU_DEP_3)
	v_add_co_u32 v4, vcc_lo, v15, v8
	v_add_co_ci_u32_e32 v8, vcc_lo, 0, v9, vcc_lo
	s_delay_alu instid0(VALU_DEP_2) | instskip(NEXT) | instid1(VALU_DEP_2)
	v_add_co_u32 v4, vcc_lo, v4, v10
	v_add_co_ci_u32_e32 v4, vcc_lo, v8, v11, vcc_lo
	v_add_co_ci_u32_e32 v8, vcc_lo, 0, v13, vcc_lo
	s_delay_alu instid0(VALU_DEP_2) | instskip(NEXT) | instid1(VALU_DEP_2)
	v_add_co_u32 v4, vcc_lo, v4, v12
	v_add_co_ci_u32_e32 v10, vcc_lo, 0, v8, vcc_lo
	s_delay_alu instid0(VALU_DEP_2) | instskip(SKIP_1) | instid1(VALU_DEP_3)
	v_mul_lo_u32 v11, s25, v4
	v_mad_u64_u32 v[8:9], null, s24, v4, 0
	v_mul_lo_u32 v12, s24, v10
	s_delay_alu instid0(VALU_DEP_2) | instskip(NEXT) | instid1(VALU_DEP_2)
	v_sub_co_u32 v8, vcc_lo, v5, v8
	v_add3_u32 v9, v9, v12, v11
	s_delay_alu instid0(VALU_DEP_1) | instskip(NEXT) | instid1(VALU_DEP_1)
	v_sub_nc_u32_e32 v11, v6, v9
	v_subrev_co_ci_u32_e64 v11, s2, s25, v11, vcc_lo
	v_add_co_u32 v12, s2, v4, 2
	s_delay_alu instid0(VALU_DEP_1) | instskip(SKIP_3) | instid1(VALU_DEP_3)
	v_add_co_ci_u32_e64 v13, s2, 0, v10, s2
	v_sub_co_u32 v14, s2, v8, s24
	v_sub_co_ci_u32_e32 v9, vcc_lo, v6, v9, vcc_lo
	v_subrev_co_ci_u32_e64 v11, s2, 0, v11, s2
	v_cmp_le_u32_e32 vcc_lo, s24, v14
	s_delay_alu instid0(VALU_DEP_3) | instskip(SKIP_1) | instid1(VALU_DEP_4)
	v_cmp_eq_u32_e64 s2, s25, v9
	v_cndmask_b32_e64 v14, 0, -1, vcc_lo
	v_cmp_le_u32_e32 vcc_lo, s25, v11
	v_cndmask_b32_e64 v15, 0, -1, vcc_lo
	v_cmp_le_u32_e32 vcc_lo, s24, v8
	;; [unrolled: 2-line block ×3, first 2 shown]
	v_cndmask_b32_e64 v16, 0, -1, vcc_lo
	v_cmp_eq_u32_e32 vcc_lo, s25, v11
	s_delay_alu instid0(VALU_DEP_2) | instskip(SKIP_3) | instid1(VALU_DEP_3)
	v_cndmask_b32_e64 v8, v16, v8, s2
	v_cndmask_b32_e32 v11, v15, v14, vcc_lo
	v_add_co_u32 v14, vcc_lo, v4, 1
	v_add_co_ci_u32_e32 v15, vcc_lo, 0, v10, vcc_lo
	v_cmp_ne_u32_e32 vcc_lo, 0, v11
	s_delay_alu instid0(VALU_DEP_3) | instskip(NEXT) | instid1(VALU_DEP_3)
	v_cndmask_b32_e32 v11, v14, v12, vcc_lo
	v_cndmask_b32_e32 v9, v15, v13, vcc_lo
	v_cmp_ne_u32_e32 vcc_lo, 0, v8
	s_delay_alu instid0(VALU_DEP_2)
	v_dual_cndmask_b32 v60, v4, v11 :: v_dual_cndmask_b32 v61, v10, v9
.LBB0_4:                                ;   in Loop: Header=BB0_2 Depth=1
	s_and_not1_saveexec_b32 s2, s3
	s_cbranch_execz .LBB0_6
; %bb.5:                                ;   in Loop: Header=BB0_2 Depth=1
	v_cvt_f32_u32_e32 v4, s24
	s_sub_i32 s3, 0, s24
	v_mov_b32_e32 v61, v3
	s_delay_alu instid0(VALU_DEP_2) | instskip(SKIP_2) | instid1(VALU_DEP_1)
	v_rcp_iflag_f32_e32 v4, v4
	s_waitcnt_depctr 0xfff
	v_mul_f32_e32 v4, 0x4f7ffffe, v4
	v_cvt_u32_f32_e32 v4, v4
	s_delay_alu instid0(VALU_DEP_1) | instskip(NEXT) | instid1(VALU_DEP_1)
	v_mul_lo_u32 v8, s3, v4
	v_mul_hi_u32 v8, v4, v8
	s_delay_alu instid0(VALU_DEP_1) | instskip(NEXT) | instid1(VALU_DEP_1)
	v_add_nc_u32_e32 v4, v4, v8
	v_mul_hi_u32 v4, v5, v4
	s_delay_alu instid0(VALU_DEP_1) | instskip(NEXT) | instid1(VALU_DEP_1)
	v_mul_lo_u32 v8, v4, s24
	v_sub_nc_u32_e32 v8, v5, v8
	s_delay_alu instid0(VALU_DEP_1) | instskip(SKIP_1) | instid1(VALU_DEP_2)
	v_subrev_nc_u32_e32 v10, s24, v8
	v_cmp_le_u32_e32 vcc_lo, s24, v8
	v_dual_cndmask_b32 v8, v8, v10 :: v_dual_add_nc_u32 v9, 1, v4
	s_delay_alu instid0(VALU_DEP_1) | instskip(NEXT) | instid1(VALU_DEP_2)
	v_cndmask_b32_e32 v4, v4, v9, vcc_lo
	v_cmp_le_u32_e32 vcc_lo, s24, v8
	s_delay_alu instid0(VALU_DEP_2) | instskip(NEXT) | instid1(VALU_DEP_1)
	v_add_nc_u32_e32 v9, 1, v4
	v_cndmask_b32_e32 v60, v4, v9, vcc_lo
.LBB0_6:                                ;   in Loop: Header=BB0_2 Depth=1
	s_or_b32 exec_lo, exec_lo, s2
	s_delay_alu instid0(VALU_DEP_1) | instskip(NEXT) | instid1(VALU_DEP_2)
	v_mul_lo_u32 v4, v61, s24
	v_mul_lo_u32 v10, v60, s25
	s_load_b64 s[2:3], s[14:15], 0x0
	v_mad_u64_u32 v[8:9], null, v60, s24, 0
	s_load_b64 s[24:25], s[12:13], 0x0
	s_add_u32 s22, s22, 1
	s_addc_u32 s23, s23, 0
	s_add_u32 s12, s12, 8
	s_addc_u32 s13, s13, 0
	s_add_u32 s14, s14, 8
	s_delay_alu instid0(VALU_DEP_1) | instskip(SKIP_3) | instid1(VALU_DEP_2)
	v_add3_u32 v4, v9, v10, v4
	v_sub_co_u32 v10, vcc_lo, v5, v8
	s_addc_u32 s15, s15, 0
	s_add_u32 s20, s20, 8
	v_sub_co_ci_u32_e32 v6, vcc_lo, v6, v4, vcc_lo
	s_addc_u32 s21, s21, 0
	s_waitcnt lgkmcnt(0)
	s_delay_alu instid0(VALU_DEP_1)
	v_mul_lo_u32 v11, s2, v6
	v_mul_lo_u32 v12, s3, v10
	v_mad_u64_u32 v[4:5], null, s2, v10, v[1:2]
	v_mul_lo_u32 v6, s24, v6
	v_mul_lo_u32 v13, s25, v10
	v_mad_u64_u32 v[8:9], null, s24, v10, v[56:57]
	v_cmp_ge_u64_e64 s2, s[22:23], s[10:11]
	v_add3_u32 v2, v12, v5, v11
	v_mov_b32_e32 v1, v4
	s_delay_alu instid0(VALU_DEP_4)
	v_add3_u32 v57, v13, v9, v6
	v_mov_b32_e32 v56, v8
	s_and_b32 vcc_lo, exec_lo, s2
	s_cbranch_vccnz .LBB0_9
; %bb.7:                                ;   in Loop: Header=BB0_2 Depth=1
	v_dual_mov_b32 v5, v60 :: v_dual_mov_b32 v6, v61
	s_branch .LBB0_2
.LBB0_8:
	v_dual_mov_b32 v57, v2 :: v_dual_mov_b32 v56, v1
	v_dual_mov_b32 v61, v6 :: v_dual_mov_b32 v60, v5
.LBB0_9:
	s_load_b64 s[0:1], s[0:1], 0x28
	v_and_b32_e32 v4, 1, v7
	v_mul_hi_u32 v3, 0x9d89d8a, v0
	s_lshl_b64 s[10:11], s[10:11], 3
                                        ; implicit-def: $vgpr58
                                        ; implicit-def: $vgpr63
                                        ; implicit-def: $vgpr68
                                        ; implicit-def: $vgpr67
                                        ; implicit-def: $vgpr66
                                        ; implicit-def: $vgpr65
                                        ; implicit-def: $vgpr62
	s_delay_alu instid0(SALU_CYCLE_1)
	s_add_u32 s2, s18, s10
	s_addc_u32 s3, s19, s11
	s_waitcnt lgkmcnt(0)
	v_cmp_gt_u64_e32 vcc_lo, s[0:1], v[60:61]
	v_cmp_le_u64_e64 s1, s[0:1], v[60:61]
	v_cmp_eq_u32_e64 s0, 1, v4
	s_delay_alu instid0(VALU_DEP_2) | instskip(NEXT) | instid1(SALU_CYCLE_1)
	s_and_saveexec_b32 s12, s1
	s_xor_b32 s1, exec_lo, s12
; %bb.10:
	v_mul_u32_u24_e32 v1, 26, v3
                                        ; implicit-def: $vgpr3
	s_delay_alu instid0(VALU_DEP_1) | instskip(NEXT) | instid1(VALU_DEP_1)
	v_sub_nc_u32_e32 v58, v0, v1
                                        ; implicit-def: $vgpr0
                                        ; implicit-def: $vgpr1_vgpr2
	v_add_nc_u32_e32 v63, 26, v58
	v_add_nc_u32_e32 v68, 52, v58
	;; [unrolled: 1-line block ×6, first 2 shown]
; %bb.11:
	s_or_saveexec_b32 s1, s1
	v_cndmask_b32_e64 v4, 0, 0x153, s0
	s_delay_alu instid0(VALU_DEP_1)
	v_lshlrev_b32_e32 v69, 4, v4
	s_xor_b32 exec_lo, exec_lo, s1
	s_cbranch_execz .LBB0_13
; %bb.12:
	s_add_u32 s10, s16, s10
	s_addc_u32 s11, s17, s11
	v_lshlrev_b64 v[1:2], 4, v[1:2]
	s_load_b64 s[10:11], s[10:11], 0x0
	s_waitcnt lgkmcnt(0)
	v_mul_lo_u32 v6, s11, v60
	v_mul_lo_u32 v7, s10, v61
	v_mad_u64_u32 v[4:5], null, s10, v60, 0
	s_delay_alu instid0(VALU_DEP_1) | instskip(SKIP_1) | instid1(VALU_DEP_2)
	v_add3_u32 v5, v5, v7, v6
	v_mul_u32_u24_e32 v6, 26, v3
	v_lshlrev_b64 v[3:4], 4, v[4:5]
	s_delay_alu instid0(VALU_DEP_2) | instskip(NEXT) | instid1(VALU_DEP_1)
	v_sub_nc_u32_e32 v58, v0, v6
	v_lshlrev_b32_e32 v52, 4, v58
	s_delay_alu instid0(VALU_DEP_3) | instskip(NEXT) | instid1(VALU_DEP_1)
	v_add_co_u32 v0, s0, s4, v3
	v_add_co_ci_u32_e64 v3, s0, s5, v4, s0
	v_add_nc_u32_e32 v63, 26, v58
	s_delay_alu instid0(VALU_DEP_3) | instskip(NEXT) | instid1(VALU_DEP_1)
	v_add_co_u32 v0, s0, v0, v1
	v_add_co_ci_u32_e64 v1, s0, v3, v2, s0
	v_add_nc_u32_e32 v68, 52, v58
	s_delay_alu instid0(VALU_DEP_3) | instskip(NEXT) | instid1(VALU_DEP_1)
	v_add_co_u32 v36, s0, v0, v52
	v_add_co_ci_u32_e64 v37, s0, 0, v1, s0
	s_clause 0x5
	global_load_b128 v[0:3], v[36:37], off
	global_load_b128 v[4:7], v[36:37], off offset:416
	global_load_b128 v[8:11], v[36:37], off offset:832
	;; [unrolled: 1-line block ×5, first 2 shown]
	v_add_co_u32 v48, s0, 0x1000, v36
	s_delay_alu instid0(VALU_DEP_1)
	v_add_co_ci_u32_e64 v49, s0, 0, v37, s0
	s_clause 0x6
	global_load_b128 v[24:27], v[36:37], off offset:2496
	global_load_b128 v[28:31], v[36:37], off offset:2912
	;; [unrolled: 1-line block ×7, first 2 shown]
	v_add3_u32 v52, 0, v69, v52
	v_add_nc_u32_e32 v67, 0x4e, v58
	v_add_nc_u32_e32 v66, 0x68, v58
	;; [unrolled: 1-line block ×4, first 2 shown]
	s_waitcnt vmcnt(12)
	ds_store_b128 v52, v[0:3]
	s_waitcnt vmcnt(11)
	ds_store_b128 v52, v[4:7] offset:416
	s_waitcnt vmcnt(10)
	ds_store_b128 v52, v[8:11] offset:832
	;; [unrolled: 2-line block ×12, first 2 shown]
.LBB0_13:
	s_or_b32 exec_lo, exec_lo, s1
	s_delay_alu instid0(VALU_DEP_1)
	v_add_nc_u32_e32 v127, 0, v69
	v_lshlrev_b32_e32 v0, 4, v58
	s_load_b64 s[2:3], s[2:3], 0x0
	s_waitcnt lgkmcnt(0)
	s_barrier
	buffer_gl0_inv
	v_add_nc_u32_e32 v126, v127, v0
	v_add3_u32 v64, 0, v0, v69
	s_mov_b32 s14, 0x4267c47c
	s_mov_b32 s4, 0x42a4c3d2
	ds_load_b128 v[0:3], v126
	ds_load_b128 v[16:19], v64 offset:416
	ds_load_b128 v[24:27], v64 offset:832
	;; [unrolled: 1-line block ×5, first 2 shown]
	s_mov_b32 s0, 0x66966769
	s_mov_b32 s12, 0x2ef20147
	;; [unrolled: 1-line block ×16, first 2 shown]
	s_waitcnt lgkmcnt(4)
	v_add_f64 v[6:7], v[2:3], v[18:19]
	v_add_f64 v[4:5], v[0:1], v[16:17]
	s_mov_b32 s22, 0xd0032e0c
	s_mov_b32 s18, 0xe00740e9
	;; [unrolled: 1-line block ×18, first 2 shown]
	v_lshl_add_u32 v128, v68, 4, v127
	v_lshl_add_u32 v59, v65, 4, v127
	s_waitcnt lgkmcnt(3)
	s_delay_alu instid0(VALU_DEP_4) | instskip(NEXT) | instid1(VALU_DEP_4)
	v_add_f64 v[6:7], v[6:7], v[26:27]
	v_add_f64 v[4:5], v[4:5], v[24:25]
	s_waitcnt lgkmcnt(2)
	s_delay_alu instid0(VALU_DEP_2) | instskip(NEXT) | instid1(VALU_DEP_2)
	v_add_f64 v[10:11], v[6:7], v[22:23]
	v_add_f64 v[8:9], v[4:5], v[20:21]
	ds_load_b128 v[4:7], v64 offset:4992
	s_waitcnt lgkmcnt(0)
	v_add_f64 v[74:75], v[18:19], -v[6:7]
	v_add_f64 v[76:77], v[18:19], v[6:7]
	v_add_f64 v[98:99], v[16:17], v[4:5]
	v_add_f64 v[108:109], v[16:17], -v[4:5]
	v_add_f64 v[44:45], v[10:11], v[30:31]
	v_add_f64 v[42:43], v[8:9], v[28:29]
	ds_load_b128 v[12:15], v64 offset:4160
	ds_load_b128 v[8:11], v64 offset:4576
	;; [unrolled: 1-line block ×6, first 2 shown]
	s_waitcnt lgkmcnt(0)
	s_barrier
	buffer_gl0_inv
	v_add_f64 v[82:83], v[22:23], -v[14:15]
	v_add_f64 v[78:79], v[26:27], -v[10:11]
	v_add_f64 v[80:81], v[26:27], v[10:11]
	v_mul_f64 v[110:111], v[74:75], s[14:15]
	v_mul_f64 v[112:113], v[74:75], s[4:5]
	;; [unrolled: 1-line block ×12, first 2 shown]
	v_add_f64 v[46:47], v[38:39], -v[72:73]
	v_add_f64 v[40:41], v[38:39], v[72:73]
	v_add_f64 v[96:97], v[44:45], v[34:35]
	v_add_f64 v[94:95], v[42:43], v[32:33]
	v_add_f64 v[84:85], v[22:23], v[14:15]
	v_add_f64 v[104:105], v[20:21], v[12:13]
	v_add_f64 v[106:107], v[20:21], -v[12:13]
	v_add_f64 v[20:21], v[36:37], v[70:71]
	v_add_f64 v[18:19], v[36:37], -v[70:71]
	v_add_f64 v[100:101], v[24:25], v[8:9]
	v_add_f64 v[102:103], v[24:25], -v[8:9]
	v_add_f64 v[90:91], v[34:35], -v[50:51]
	v_add_f64 v[92:93], v[34:35], v[50:51]
	v_add_f64 v[24:25], v[32:33], v[48:49]
	v_add_f64 v[22:23], v[32:33], -v[48:49]
	v_add_f64 v[86:87], v[30:31], -v[54:55]
	v_add_f64 v[88:89], v[30:31], v[54:55]
	v_add_f64 v[30:31], v[28:29], v[52:53]
	v_add_f64 v[26:27], v[28:29], -v[52:53]
	v_mul_f64 v[199:200], v[82:83], s[10:11]
	v_mul_f64 v[133:134], v[78:79], s[12:13]
	;; [unrolled: 1-line block ×5, first 2 shown]
	v_fma_f64 v[203:204], v[98:99], s[24:25], v[114:115]
	v_fma_f64 v[114:115], v[98:99], s[24:25], -v[114:115]
	v_fma_f64 v[205:206], v[98:99], s[36:37], v[116:117]
	v_fma_f64 v[116:117], v[98:99], s[36:37], -v[116:117]
	;; [unrolled: 2-line block ×4, first 2 shown]
	v_fma_f64 v[213:214], v[108:109], s[38:39], v[124:125]
	v_mul_f64 v[157:158], v[78:79], s[40:41]
	v_mul_f64 v[159:160], v[80:81], s[22:23]
	v_fma_f64 v[215:216], v[108:109], s[42:43], v[129:130]
	v_add_f64 v[96:97], v[96:97], v[38:39]
	v_add_f64 v[94:95], v[94:95], v[36:37]
	v_mul_f64 v[177:178], v[78:79], s[38:39]
	v_mul_f64 v[179:180], v[80:81], s[24:25]
	v_fma_f64 v[217:218], v[108:109], s[40:41], v[131:132]
	v_mul_f64 v[195:196], v[78:79], s[28:29]
	v_mul_f64 v[197:198], v[80:81], s[18:19]
	v_fma_f64 v[131:132], v[108:109], s[10:11], v[131:132]
	v_fma_f64 v[219:220], v[108:109], s[34:35], v[76:77]
	v_fma_f64 v[209:210], v[108:109], s[28:29], v[120:121]
	v_fma_f64 v[120:121], v[108:109], s[14:15], v[120:121]
	v_fma_f64 v[124:125], v[108:109], s[0:1], v[124:125]
	v_fma_f64 v[129:130], v[108:109], s[12:13], v[129:130]
	v_fma_f64 v[76:77], v[108:109], s[16:17], v[76:77]
	v_mul_f64 v[201:202], v[84:85], s[22:23]
	v_mul_f64 v[78:79], v[78:79], s[4:5]
	;; [unrolled: 1-line block ×9, first 2 shown]
	v_fma_f64 v[221:222], v[102:103], s[42:43], v[135:136]
	v_fma_f64 v[227:228], v[100:101], s[26:27], v[141:142]
	;; [unrolled: 1-line block ×3, first 2 shown]
	v_add_f64 v[203:204], v[0:1], v[203:204]
	v_mul_f64 v[181:182], v[82:83], s[4:5]
	v_add_f64 v[205:206], v[0:1], v[205:206]
	v_mul_f64 v[183:184], v[84:85], s[20:21]
	v_add_f64 v[207:208], v[0:1], v[207:208]
	v_add_f64 v[114:115], v[0:1], v[114:115]
	;; [unrolled: 1-line block ×5, first 2 shown]
	v_fma_f64 v[235:236], v[100:101], s[22:23], v[157:158]
	v_fma_f64 v[237:238], v[102:103], s[10:11], v[159:160]
	v_add_f64 v[215:216], v[2:3], v[215:216]
	v_add_f64 v[72:73], v[96:97], v[72:73]
	;; [unrolled: 1-line block ×3, first 2 shown]
	v_fma_f64 v[94:95], v[98:99], s[18:19], v[110:111]
	v_fma_f64 v[96:97], v[98:99], s[18:19], -v[110:111]
	v_fma_f64 v[110:111], v[98:99], s[20:21], v[112:113]
	v_fma_f64 v[112:113], v[98:99], s[20:21], -v[112:113]
	v_fma_f64 v[98:99], v[108:109], s[30:31], v[122:123]
	v_fma_f64 v[122:123], v[108:109], s[4:5], v[122:123]
	;; [unrolled: 1-line block ×4, first 2 shown]
	v_add_f64 v[217:218], v[2:3], v[217:218]
	v_fma_f64 v[179:180], v[102:103], s[38:39], v[179:180]
	v_fma_f64 v[247:248], v[100:101], s[18:19], v[195:196]
	v_add_f64 v[131:132], v[2:3], v[131:132]
	v_add_f64 v[211:212], v[0:1], v[211:212]
	;; [unrolled: 1-line block ×7, first 2 shown]
	v_mul_f64 v[82:83], v[82:83], s[0:1]
	v_mul_f64 v[84:85], v[84:85], s[24:25]
	v_fma_f64 v[133:134], v[100:101], s[36:37], -v[133:134]
	v_fma_f64 v[141:142], v[100:101], s[26:27], -v[141:142]
	v_fma_f64 v[135:136], v[102:103], s[12:13], v[135:136]
	v_fma_f64 v[143:144], v[102:103], s[16:17], v[143:144]
	v_mul_f64 v[44:45], v[86:87], s[40:41]
	v_mul_f64 v[42:43], v[88:89], s[22:23]
	v_fma_f64 v[223:224], v[104:105], s[26:27], v[137:138]
	v_fma_f64 v[225:226], v[106:107], s[34:35], v[139:140]
	v_mul_f64 v[149:150], v[86:87], s[28:29]
	v_mul_f64 v[151:152], v[88:89], s[18:19]
	v_fma_f64 v[231:232], v[104:105], s[36:37], v[145:146]
	v_fma_f64 v[233:234], v[106:107], s[12:13], v[147:148]
	v_add_f64 v[203:204], v[227:228], v[203:204]
	v_add_f64 v[213:214], v[229:230], v[213:214]
	v_mul_f64 v[165:166], v[86:87], s[0:1]
	v_mul_f64 v[167:168], v[88:89], s[24:25]
	v_add_f64 v[50:51], v[72:73], v[50:51]
	v_add_f64 v[48:49], v[70:71], v[48:49]
	v_fma_f64 v[72:73], v[100:101], s[24:25], v[177:178]
	v_add_f64 v[94:95], v[0:1], v[94:95]
	v_add_f64 v[110:111], v[0:1], v[110:111]
	;; [unrolled: 1-line block ×6, first 2 shown]
	v_fma_f64 v[74:75], v[102:103], s[14:15], v[197:198]
	v_add_f64 v[122:123], v[2:3], v[122:123]
	v_add_f64 v[2:3], v[2:3], v[76:77]
	v_fma_f64 v[177:178], v[100:101], s[24:25], -v[177:178]
	v_fma_f64 v[76:77], v[104:105], s[22:23], v[199:200]
	v_fma_f64 v[239:240], v[104:105], s[18:19], v[161:162]
	;; [unrolled: 1-line block ×3, first 2 shown]
	v_add_f64 v[205:206], v[235:236], v[205:206]
	v_add_f64 v[215:216], v[237:238], v[215:216]
	v_mul_f64 v[185:186], v[86:87], s[34:35]
	v_mul_f64 v[187:188], v[88:89], s[26:27]
	v_fma_f64 v[243:244], v[104:105], s[20:21], v[181:182]
	v_fma_f64 v[245:246], v[106:107], s[30:31], v[183:184]
	v_add_f64 v[217:218], v[241:242], v[217:218]
	v_fma_f64 v[183:184], v[106:107], s[4:5], v[183:184]
	v_add_f64 v[131:132], v[179:180], v[131:132]
	v_add_f64 v[211:212], v[247:248], v[211:212]
	v_fma_f64 v[181:182], v[104:105], s[20:21], -v[181:182]
	v_fma_f64 v[137:138], v[104:105], s[26:27], -v[137:138]
	v_fma_f64 v[145:146], v[104:105], s[36:37], -v[145:146]
	v_fma_f64 v[139:140], v[106:107], s[16:17], v[139:140]
	v_fma_f64 v[147:148], v[106:107], s[42:43], v[147:148]
	v_add_f64 v[114:115], v[141:142], v[114:115]
	v_add_f64 v[124:125], v[143:144], v[124:125]
	v_mul_f64 v[34:35], v[90:91], s[38:39]
	v_mul_f64 v[32:33], v[92:93], s[24:25]
	v_fma_f64 v[241:242], v[26:27], s[10:11], v[42:43]
	v_mul_f64 v[153:154], v[90:91], s[4:5]
	v_mul_f64 v[155:156], v[92:93], s[20:21]
	v_add_f64 v[50:51], v[50:51], v[54:55]
	v_fma_f64 v[54:55], v[100:101], s[18:19], -v[195:196]
	v_fma_f64 v[195:196], v[102:103], s[28:29], v[197:198]
	v_add_f64 v[48:49], v[48:49], v[52:53]
	v_fma_f64 v[52:53], v[106:107], s[40:41], v[201:202]
	v_fma_f64 v[197:198], v[104:105], s[22:23], -v[199:200]
	v_fma_f64 v[199:200], v[106:107], s[10:11], v[201:202]
	v_fma_f64 v[201:202], v[100:101], s[20:21], v[78:79]
	v_fma_f64 v[78:79], v[100:101], s[20:21], -v[78:79]
	v_fma_f64 v[100:101], v[100:101], s[22:23], -v[157:158]
	v_fma_f64 v[157:158], v[102:103], s[30:31], v[80:81]
	v_fma_f64 v[80:81], v[102:103], s[4:5], v[80:81]
	;; [unrolled: 1-line block ×3, first 2 shown]
	v_add_f64 v[108:109], v[108:109], v[110:111]
	v_add_f64 v[98:99], v[221:222], v[98:99]
	;; [unrolled: 1-line block ×3, first 2 shown]
	v_mul_f64 v[110:111], v[86:87], s[30:31]
	v_mul_f64 v[221:222], v[88:89], s[20:21]
	v_add_f64 v[74:75], v[74:75], v[219:220]
	v_add_f64 v[118:119], v[177:178], v[118:119]
	v_fma_f64 v[159:160], v[104:105], s[24:25], v[82:83]
	v_fma_f64 v[82:83], v[104:105], s[24:25], -v[82:83]
	v_fma_f64 v[104:105], v[104:105], s[18:19], -v[161:162]
	v_fma_f64 v[161:162], v[106:107], s[38:39], v[84:85]
	v_fma_f64 v[84:85], v[106:107], s[0:1], v[84:85]
	;; [unrolled: 1-line block ×3, first 2 shown]
	v_mul_f64 v[86:87], v[86:87], s[12:13]
	v_mul_f64 v[88:89], v[88:89], s[36:37]
	v_add_f64 v[112:113], v[133:134], v[112:113]
	v_add_f64 v[122:123], v[135:136], v[122:123]
	v_fma_f64 v[207:208], v[30:31], s[22:23], v[44:45]
	v_add_f64 v[203:204], v[231:232], v[203:204]
	v_add_f64 v[213:214], v[233:234], v[213:214]
	v_mul_f64 v[169:170], v[90:91], s[34:35]
	v_mul_f64 v[171:172], v[92:93], s[26:27]
	v_fma_f64 v[133:134], v[30:31], s[24:25], v[165:166]
	v_fma_f64 v[135:136], v[26:27], s[38:39], v[167:168]
	v_add_f64 v[205:206], v[239:240], v[205:206]
	v_add_f64 v[70:71], v[70:71], v[215:216]
	;; [unrolled: 1-line block ×4, first 2 shown]
	v_fma_f64 v[54:55], v[30:31], s[18:19], v[149:150]
	v_fma_f64 v[195:196], v[26:27], s[14:15], v[151:152]
	v_mul_f64 v[189:190], v[90:91], s[28:29]
	v_mul_f64 v[191:192], v[92:93], s[18:19]
	v_add_f64 v[94:95], v[201:202], v[94:95]
	v_add_f64 v[78:79], v[78:79], v[96:97]
	;; [unrolled: 1-line block ×8, first 2 shown]
	v_fma_f64 v[223:224], v[30:31], s[26:27], v[185:186]
	v_fma_f64 v[225:226], v[26:27], s[16:17], v[187:188]
	v_add_f64 v[72:73], v[243:244], v[72:73]
	v_add_f64 v[217:218], v[245:246], v[217:218]
	v_mul_f64 v[227:228], v[90:91], s[12:13]
	v_mul_f64 v[229:230], v[92:93], s[36:37]
	v_fma_f64 v[187:188], v[26:27], s[34:35], v[187:188]
	v_fma_f64 v[243:244], v[30:31], s[20:21], v[110:111]
	;; [unrolled: 1-line block ×3, first 2 shown]
	v_add_f64 v[131:132], v[183:184], v[131:132]
	v_add_f64 v[76:77], v[76:77], v[211:212]
	;; [unrolled: 1-line block ×3, first 2 shown]
	v_fma_f64 v[110:111], v[30:31], s[20:21], -v[110:111]
	v_fma_f64 v[221:222], v[26:27], s[30:31], v[221:222]
	v_fma_f64 v[185:186], v[30:31], s[26:27], -v[185:186]
	v_add_f64 v[118:119], v[181:182], v[118:119]
	v_mul_f64 v[90:91], v[90:91], s[10:11]
	v_mul_f64 v[92:93], v[92:93], s[22:23]
	v_fma_f64 v[74:75], v[30:31], s[36:37], v[86:87]
	v_fma_f64 v[86:87], v[30:31], s[36:37], -v[86:87]
	v_fma_f64 v[44:45], v[30:31], s[22:23], -v[44:45]
	v_fma_f64 v[149:150], v[30:31], s[18:19], -v[149:150]
	v_fma_f64 v[30:31], v[30:31], s[24:25], -v[165:166]
	v_fma_f64 v[165:166], v[26:27], s[12:13], v[88:89]
	v_add_f64 v[0:1], v[197:198], v[0:1]
	v_add_f64 v[2:3], v[199:200], v[2:3]
	v_fma_f64 v[42:43], v[26:27], s[40:41], v[42:43]
	v_fma_f64 v[151:152], v[26:27], s[28:29], v[151:152]
	;; [unrolled: 1-line block ×4, first 2 shown]
	v_add_f64 v[94:95], v[159:160], v[94:95]
	v_add_f64 v[78:79], v[82:83], v[78:79]
	v_add_f64 v[82:83], v[137:138], v[112:113]
	v_add_f64 v[112:113], v[145:146], v[114:115]
	v_add_f64 v[80:81], v[84:85], v[80:81]
	v_add_f64 v[84:85], v[139:140], v[122:123]
	v_add_f64 v[114:115], v[147:148], v[124:125]
	v_add_f64 v[100:101], v[104:105], v[100:101]
	v_add_f64 v[102:103], v[106:107], v[102:103]
	v_add_f64 v[88:89], v[161:162], v[157:158]
	v_mul_f64 v[28:29], v[46:47], s[28:29]
	v_mul_f64 v[16:17], v[40:41], s[18:19]
	v_fma_f64 v[177:178], v[24:25], s[24:25], v[34:35]
	v_fma_f64 v[179:180], v[22:23], s[0:1], v[32:33]
	v_add_f64 v[108:109], v[207:208], v[108:109]
	v_add_f64 v[98:99], v[241:242], v[98:99]
	v_mul_f64 v[38:39], v[46:47], s[10:11]
	v_mul_f64 v[36:37], v[40:41], s[22:23]
	v_fma_f64 v[201:202], v[24:25], s[20:21], v[153:154]
	v_fma_f64 v[209:210], v[22:23], s[30:31], v[155:156]
	v_add_f64 v[54:55], v[54:55], v[203:204]
	v_add_f64 v[122:123], v[195:196], v[213:214]
	;; [unrolled: 6-line block ×4, first 2 shown]
	v_mul_f64 v[235:236], v[46:47], s[38:39]
	v_mul_f64 v[237:238], v[40:41], s[24:25]
	v_fma_f64 v[191:192], v[22:23], s[28:29], v[191:192]
	v_fma_f64 v[181:182], v[24:25], s[36:37], v[227:228]
	;; [unrolled: 1-line block ×3, first 2 shown]
	v_add_f64 v[131:132], v[187:188], v[131:132]
	v_add_f64 v[12:13], v[48:49], v[12:13]
	;; [unrolled: 1-line block ×5, first 2 shown]
	v_fma_f64 v[104:105], v[24:25], s[36:37], -v[227:228]
	v_fma_f64 v[106:107], v[22:23], s[12:13], v[229:230]
	v_add_f64 v[0:1], v[110:111], v[0:1]
	v_add_f64 v[2:3], v[221:222], v[2:3]
	v_fma_f64 v[189:190], v[24:25], s[18:19], -v[189:190]
	v_add_f64 v[118:119], v[185:186], v[118:119]
	v_mul_f64 v[46:47], v[46:47], s[16:17]
	v_fma_f64 v[52:53], v[24:25], s[22:23], v[90:91]
	v_fma_f64 v[76:77], v[24:25], s[22:23], -v[90:91]
	v_fma_f64 v[34:35], v[24:25], s[24:25], -v[34:35]
	;; [unrolled: 1-line block ×4, first 2 shown]
	v_fma_f64 v[110:111], v[22:23], s[10:11], v[92:93]
	v_fma_f64 v[32:33], v[22:23], s[38:39], v[32:33]
	v_fma_f64 v[135:136], v[22:23], s[4:5], v[155:156]
	v_fma_f64 v[137:138], v[22:23], s[34:35], v[171:172]
	v_add_f64 v[74:75], v[74:75], v[94:95]
	v_add_f64 v[78:79], v[86:87], v[78:79]
	;; [unrolled: 1-line block ×9, first 2 shown]
	v_mul_f64 v[40:41], v[40:41], s[26:27]
	v_fma_f64 v[22:23], v[22:23], s[40:41], v[92:93]
	v_add_f64 v[26:27], v[26:27], v[88:89]
	v_fma_f64 v[247:248], v[20:21], s[18:19], v[28:29]
	v_fma_f64 v[219:220], v[18:19], s[14:15], v[16:17]
	v_add_f64 v[88:89], v[177:178], v[108:109]
	v_add_f64 v[92:93], v[179:180], v[98:99]
	v_fma_f64 v[96:97], v[20:21], s[22:23], v[38:39]
	v_fma_f64 v[120:121], v[18:19], s[40:41], v[36:37]
	v_add_f64 v[54:55], v[201:202], v[54:55]
	;; [unrolled: 4-line block ×4, first 2 shown]
	v_add_f64 v[108:109], v[233:234], v[133:134]
	v_add_f64 v[114:115], v[191:192], v[131:132]
	;; [unrolled: 1-line block ×4, first 2 shown]
	v_fma_f64 v[124:125], v[20:21], s[24:25], v[235:236]
	v_fma_f64 v[131:132], v[18:19], s[0:1], v[237:238]
	v_add_f64 v[0:1], v[104:105], v[0:1]
	v_add_f64 v[2:3], v[106:107], v[2:3]
	v_fma_f64 v[104:105], v[20:21], s[24:25], -v[235:236]
	v_fma_f64 v[106:107], v[18:19], s[38:39], v[237:238]
	v_fma_f64 v[94:95], v[20:21], s[36:37], -v[193:194]
	v_fma_f64 v[100:101], v[18:19], s[12:13], v[163:164]
	v_add_f64 v[112:113], v[189:190], v[118:119]
	v_fma_f64 v[133:134], v[20:21], s[26:27], v[46:47]
	v_fma_f64 v[46:47], v[20:21], s[26:27], -v[46:47]
	v_fma_f64 v[139:140], v[20:21], s[18:19], -v[28:29]
	;; [unrolled: 1-line block ×3, first 2 shown]
	v_add_f64 v[52:53], v[52:53], v[74:75]
	v_add_f64 v[74:75], v[76:77], v[78:79]
	;; [unrolled: 1-line block ×9, first 2 shown]
	v_fma_f64 v[86:87], v[18:19], s[30:31], v[175:176]
	v_fma_f64 v[38:39], v[20:21], s[22:23], -v[38:39]
	v_fma_f64 v[90:91], v[18:19], s[10:11], v[36:37]
	v_fma_f64 v[110:111], v[18:19], s[28:29], v[16:17]
	;; [unrolled: 1-line block ×3, first 2 shown]
	v_add_f64 v[118:119], v[12:13], v[8:9]
	v_add_f64 v[122:123], v[14:15], v[10:11]
	v_fma_f64 v[137:138], v[18:19], s[34:35], v[40:41]
	v_add_f64 v[143:144], v[22:23], v[26:27]
	v_add_f64 v[8:9], v[247:248], v[88:89]
	;; [unrolled: 1-line block ×11, first 2 shown]
	v_cmp_gt_u32_e64 s0, 13, v58
	v_add_f64 v[32:33], v[104:105], v[0:1]
	v_add_f64 v[34:35], v[106:107], v[2:3]
	v_lshlrev_b32_e32 v70, 4, v62
	v_add_f64 v[26:27], v[100:101], v[114:115]
	v_add_f64 v[24:25], v[94:95], v[112:113]
	;; [unrolled: 1-line block ×4, first 2 shown]
	v_mad_u32_u24 v52, 0xc0, v58, v64
	v_add_f64 v[36:37], v[139:140], v[44:45]
	v_lshl_add_u32 v133, v63, 4, v127
	v_add_f64 v[44:45], v[141:142], v[82:83]
	v_add_f64 v[46:47], v[86:87], v[84:85]
	v_add_f64 v[40:41], v[38:39], v[42:43]
	v_add_f64 v[42:43], v[90:91], v[80:81]
	v_add_f64 v[38:39], v[110:111], v[78:79]
	v_add_f64 v[2:3], v[135:136], v[76:77]
	v_add_f64 v[4:5], v[118:119], v[4:5]
	v_add_f64 v[6:7], v[122:123], v[6:7]
	v_lshl_add_u32 v119, v67, 4, v127
	v_add_f64 v[50:51], v[137:138], v[143:144]
	v_lshl_add_u32 v118, v66, 4, v127
	ds_store_b128 v52, v[8:11] offset:32
	ds_store_b128 v52, v[12:15] offset:48
	;; [unrolled: 1-line block ×11, first 2 shown]
	ds_store_b128 v52, v[4:7]
	ds_store_b128 v52, v[48:51] offset:16
	s_waitcnt lgkmcnt(0)
	s_barrier
	buffer_gl0_inv
	ds_load_b128 v[8:11], v126
	ds_load_b128 v[32:35], v64 offset:2704
	ds_load_b128 v[40:43], v64 offset:3120
	;; [unrolled: 1-line block ×3, first 2 shown]
	ds_load_b128 v[20:23], v128
	ds_load_b128 v[12:15], v119
	ds_load_b128 v[48:51], v64 offset:3952
	ds_load_b128 v[44:47], v64 offset:4368
	ds_load_b128 v[24:27], v118
	ds_load_b128 v[16:19], v59
	;; [unrolled: 1-line block ×3, first 2 shown]
	ds_load_b128 v[52:55], v64 offset:4784
                                        ; implicit-def: $vgpr6_vgpr7
	s_and_saveexec_b32 s1, s0
	s_cbranch_execz .LBB0_15
; %bb.14:
	v_add3_u32 v0, 0, v70, v69
	ds_load_b128 v[0:3], v0
	ds_load_b128 v[4:7], v64 offset:5200
.LBB0_15:
	s_or_b32 exec_lo, exec_lo, s1
	v_and_b32_e32 v72, 0xff, v63
	v_and_b32_e32 v73, 0xff, v68
	;; [unrolled: 1-line block ×5, first 2 shown]
	v_mul_lo_u16 v76, 0x4f, v72
	v_mul_lo_u16 v73, 0x4f, v73
	v_dual_mov_b32 v96, 0 :: v_dual_add_nc_u32 v71, -13, v58
	v_mul_lo_u16 v74, 0x4f, v74
	s_delay_alu instid0(VALU_DEP_4) | instskip(NEXT) | instid1(VALU_DEP_4)
	v_lshrrev_b16 v108, 10, v76
	v_lshrrev_b16 v109, 10, v73
	v_mul_lo_u16 v73, 0x4f, v75
	v_mul_lo_u16 v75, 0x4f, v77
	v_cndmask_b32_e64 v95, v71, v58, s0
	v_mul_lo_u16 v76, v108, 13
	v_lshrrev_b16 v110, 10, v74
	v_mul_lo_u16 v74, v109, 13
	v_lshrrev_b16 v111, 10, v73
	v_lshrrev_b16 v112, 10, v75
	v_lshlrev_b64 v[71:72], 4, v[95:96]
	v_sub_nc_u16 v73, v63, v76
	v_mul_lo_u16 v75, v110, 13
	v_sub_nc_u16 v74, v68, v74
	v_mul_lo_u16 v76, v111, 13
	v_mul_lo_u16 v77, v112, 13
	v_and_b32_e32 v73, 0xff, v73
	v_sub_nc_u16 v75, v67, v75
	v_add_co_u32 v71, s1, s8, v71
	v_and_b32_e32 v74, 0xff, v74
	v_sub_nc_u16 v76, v66, v76
	v_add_co_ci_u32_e64 v72, s1, s9, v72, s1
	v_sub_nc_u16 v77, v65, v77
	v_lshlrev_b32_e32 v113, 4, v73
	v_and_b32_e32 v75, 0xff, v75
	v_lshlrev_b32_e32 v114, 4, v74
	v_and_b32_e32 v79, 0xff, v76
	v_and_b32_e32 v83, 0xff, v77
	global_load_b128 v[71:74], v[71:72], off
	v_lshlrev_b32_e32 v115, 4, v75
	global_load_b128 v[75:78], v113, s[8:9]
	v_lshlrev_b32_e32 v116, 4, v79
	global_load_b128 v[79:82], v114, s[8:9]
	v_lshlrev_b32_e32 v117, 4, v83
	s_clause 0x2
	global_load_b128 v[83:86], v115, s[8:9]
	global_load_b128 v[87:90], v116, s[8:9]
	;; [unrolled: 1-line block ×3, first 2 shown]
	v_cmp_lt_u32_e64 s1, 12, v58
	s_waitcnt vmcnt(0) lgkmcnt(0)
	s_barrier
	buffer_gl0_inv
	v_mul_f64 v[96:97], v[34:35], v[73:74]
	v_mul_f64 v[73:74], v[32:33], v[73:74]
	;; [unrolled: 1-line block ×12, first 2 shown]
	v_fma_f64 v[32:33], v[32:33], v[71:72], v[96:97]
	v_fma_f64 v[34:35], v[34:35], v[71:72], -v[73:74]
	v_fma_f64 v[40:41], v[40:41], v[75:76], v[98:99]
	v_fma_f64 v[42:43], v[42:43], v[75:76], -v[77:78]
	;; [unrolled: 2-line block ×6, first 2 shown]
	v_add_f64 v[32:33], v[8:9], -v[32:33]
	v_add_f64 v[34:35], v[10:11], -v[34:35]
	;; [unrolled: 1-line block ×12, first 2 shown]
	v_cndmask_b32_e64 v71, 0, 0x1a0, s1
	v_lshlrev_b32_e32 v72, 4, v95
	v_and_b32_e32 v73, 0xffff, v109
	v_and_b32_e32 v74, 0xffff, v110
	;; [unrolled: 1-line block ×3, first 2 shown]
	v_add_nc_u32_e32 v71, 0, v71
	v_and_b32_e32 v76, 0xffff, v112
	v_mad_u32_u24 v73, 0x1a0, v73, 0
	v_mad_u32_u24 v74, 0x1a0, v74, 0
	;; [unrolled: 1-line block ×3, first 2 shown]
	v_add3_u32 v71, v71, v72, v69
	v_and_b32_e32 v72, 0xffff, v108
	v_mad_u32_u24 v76, 0x1a0, v76, 0
	v_add3_u32 v73, v73, v114, v69
	v_add3_u32 v74, v74, v115, v69
	;; [unrolled: 1-line block ×3, first 2 shown]
	v_mad_u32_u24 v72, 0x1a0, v72, 0
	v_add3_u32 v76, v76, v117, v69
	s_delay_alu instid0(VALU_DEP_2)
	v_add3_u32 v72, v72, v113, v69
	v_fma_f64 v[8:9], v[8:9], 2.0, -v[32:33]
	v_fma_f64 v[10:11], v[10:11], 2.0, -v[34:35]
	;; [unrolled: 1-line block ×12, first 2 shown]
	ds_store_b128 v71, v[8:11]
	ds_store_b128 v71, v[32:35] offset:208
	ds_store_b128 v72, v[28:31]
	ds_store_b128 v72, v[36:39] offset:208
	;; [unrolled: 2-line block ×6, first 2 shown]
	s_and_saveexec_b32 s1, s0
	s_cbranch_execz .LBB0_17
; %bb.16:
	v_and_b32_e32 v8, 0xff, v62
	s_delay_alu instid0(VALU_DEP_1) | instskip(NEXT) | instid1(VALU_DEP_1)
	v_mul_lo_u16 v8, 0x4f, v8
	v_lshrrev_b16 v8, 10, v8
	s_delay_alu instid0(VALU_DEP_1) | instskip(NEXT) | instid1(VALU_DEP_1)
	v_mul_lo_u16 v8, v8, 13
	v_sub_nc_u16 v8, v62, v8
	s_delay_alu instid0(VALU_DEP_1) | instskip(NEXT) | instid1(VALU_DEP_1)
	v_and_b32_e32 v8, 0xff, v8
	v_lshlrev_b32_e32 v14, 4, v8
	global_load_b128 v[8:11], v14, s[8:9]
	s_waitcnt vmcnt(0)
	v_mul_f64 v[12:13], v[4:5], v[10:11]
	v_mul_f64 v[10:11], v[6:7], v[10:11]
	s_delay_alu instid0(VALU_DEP_2) | instskip(NEXT) | instid1(VALU_DEP_2)
	v_fma_f64 v[6:7], v[6:7], v[8:9], -v[12:13]
	v_fma_f64 v[4:5], v[4:5], v[8:9], v[10:11]
	v_add3_u32 v8, 0, v14, v69
	s_delay_alu instid0(VALU_DEP_3) | instskip(NEXT) | instid1(VALU_DEP_3)
	v_add_f64 v[6:7], v[2:3], -v[6:7]
	v_add_f64 v[4:5], v[0:1], -v[4:5]
	s_delay_alu instid0(VALU_DEP_2) | instskip(NEXT) | instid1(VALU_DEP_2)
	v_fma_f64 v[2:3], v[2:3], 2.0, -v[6:7]
	v_fma_f64 v[0:1], v[0:1], 2.0, -v[4:5]
	ds_store_b128 v8, v[0:3] offset:4992
	ds_store_b128 v8, v[4:7] offset:5200
.LBB0_17:
	s_or_b32 exec_lo, exec_lo, s1
	v_mul_u32_u24_e32 v0, 12, v58
	s_waitcnt lgkmcnt(0)
	s_barrier
	buffer_gl0_inv
	s_mov_b32 s44, 0x4267c47c
	v_lshlrev_b32_e32 v32, 4, v0
	s_mov_b32 s28, 0x42a4c3d2
	s_mov_b32 s42, 0x66966769
	;; [unrolled: 1-line block ×4, first 2 shown]
	s_clause 0x2
	global_load_b128 v[0:3], v32, s[8:9] offset:208
	global_load_b128 v[6:9], v32, s[8:9] offset:224
	;; [unrolled: 1-line block ×3, first 2 shown]
	ds_load_b128 v[14:17], v133
	ds_load_b128 v[18:21], v64 offset:4992
	scratch_store_b32 off, v119, off offset:8 ; 4-byte Folded Spill
	s_mov_b32 s24, 0x4bc48dbf
	s_mov_b32 s45, 0xbfddbe06
	s_mov_b32 s29, 0xbfea55e2
	s_mov_b32 s43, 0xbfefc445
	s_mov_b32 s23, 0xbfedeba7
	s_mov_b32 s37, 0xbfe5384d
	s_mov_b32 s25, 0xbfcea1e5
	s_mov_b32 s4, 0x93053d00
	s_mov_b32 s5, 0xbfef11f4
	s_mov_b32 s14, 0x1ea71119
	s_mov_b32 s16, 0xebaa3ed8
	s_mov_b32 s12, 0xb2365da1
	s_mov_b32 s10, 0xd0032e0c
	s_mov_b32 s15, 0x3fe22d96
	s_mov_b32 s17, 0x3fbedb7d
	s_mov_b32 s13, 0xbfd6b1d8
	s_mov_b32 s11, 0xbfe7f3cc
	s_mov_b32 s41, 0x3fddbe06
	s_mov_b32 s39, 0x3fea55e2
	s_mov_b32 s35, 0x3fefc445
	s_mov_b32 s31, 0x3fedeba7
	s_mov_b32 s27, 0x3fe5384d
	s_mov_b32 s21, 0x3fcea1e5
	s_mov_b32 s40, s44
	s_mov_b32 s38, s28
	s_mov_b32 s34, s42
	s_mov_b32 s30, s22
	s_mov_b32 s26, s36
	s_mov_b32 s20, s24
	s_waitcnt vmcnt(2) lgkmcnt(1)
	v_mul_f64 v[22:23], v[16:17], v[2:3]
	v_mul_f64 v[24:25], v[14:15], v[2:3]
	ds_load_b128 v[2:5], v128
	v_fma_f64 v[54:55], v[14:15], v[0:1], v[22:23]
	v_fma_f64 v[73:74], v[16:17], v[0:1], -v[24:25]
	ds_load_b128 v[14:17], v119
	s_waitcnt vmcnt(1) lgkmcnt(1)
	v_mul_f64 v[0:1], v[2:3], v[8:9]
	v_mul_f64 v[8:9], v[4:5], v[8:9]
	global_load_b128 v[22:25], v32, s[8:9] offset:368
	v_fma_f64 v[4:5], v[4:5], v[6:7], -v[0:1]
	v_fma_f64 v[6:7], v[2:3], v[6:7], v[8:9]
	s_waitcnt vmcnt(1)
	v_mul_f64 v[0:1], v[18:19], v[12:13]
	v_mul_f64 v[2:3], v[20:21], v[12:13]
	s_delay_alu instid0(VALU_DEP_2) | instskip(NEXT) | instid1(VALU_DEP_2)
	v_fma_f64 v[0:1], v[20:21], v[10:11], -v[0:1]
	v_fma_f64 v[2:3], v[18:19], v[10:11], v[2:3]
	s_clause 0x1
	global_load_b128 v[8:11], v32, s[8:9] offset:240
	global_load_b128 v[26:29], v32, s[8:9] offset:256
	v_add_f64 v[77:78], v[54:55], v[2:3]
	s_waitcnt vmcnt(1) lgkmcnt(0)
	v_mul_f64 v[12:13], v[14:15], v[10:11]
	v_mul_f64 v[10:11], v[16:17], v[10:11]
	s_delay_alu instid0(VALU_DEP_2)
	v_fma_f64 v[12:13], v[16:17], v[8:9], -v[12:13]
	ds_load_b128 v[16:19], v64 offset:4576
	ds_load_b128 v[33:36], v64 offset:4160
	v_fma_f64 v[14:15], v[14:15], v[8:9], v[10:11]
	s_waitcnt lgkmcnt(1)
	v_mul_f64 v[8:9], v[16:17], v[24:25]
	v_mul_f64 v[10:11], v[18:19], v[24:25]
	s_delay_alu instid0(VALU_DEP_2)
	v_fma_f64 v[8:9], v[18:19], v[22:23], -v[8:9]
	s_clause 0x1
	global_load_b128 v[18:21], v32, s[8:9] offset:352
	global_load_b128 v[42:45], v32, s[8:9] offset:336
	v_fma_f64 v[10:11], v[16:17], v[22:23], v[10:11]
	ds_load_b128 v[22:25], v118
	s_clause 0x1
	scratch_store_b32 off, v118, off offset:4
	scratch_store_b32 off, v59, off
	s_waitcnt vmcnt(1) lgkmcnt(1)
	v_mul_f64 v[16:17], v[33:34], v[20:21]
	v_mul_f64 v[20:21], v[35:36], v[20:21]
	s_delay_alu instid0(VALU_DEP_2) | instskip(NEXT) | instid1(VALU_DEP_2)
	v_fma_f64 v[16:17], v[35:36], v[18:19], -v[16:17]
	v_fma_f64 v[18:19], v[33:34], v[18:19], v[20:21]
	ds_load_b128 v[33:36], v59
	s_waitcnt lgkmcnt(1)
	v_mul_f64 v[20:21], v[24:25], v[28:29]
	v_mov_b32_e32 v59, v126
	s_delay_alu instid0(VALU_DEP_2) | instskip(SKIP_1) | instid1(VALU_DEP_1)
	v_fma_f64 v[20:21], v[22:23], v[26:27], v[20:21]
	v_mul_f64 v[22:23], v[22:23], v[28:29]
	v_fma_f64 v[22:23], v[24:25], v[26:27], -v[22:23]
	s_clause 0x1
	global_load_b128 v[26:29], v32, s[8:9] offset:272
	global_load_b128 v[37:40], v32, s[8:9] offset:288
	s_waitcnt vmcnt(1) lgkmcnt(0)
	v_mul_f64 v[24:25], v[35:36], v[28:29]
	v_mul_f64 v[28:29], v[33:34], v[28:29]
	s_delay_alu instid0(VALU_DEP_2) | instskip(NEXT) | instid1(VALU_DEP_2)
	v_fma_f64 v[24:25], v[33:34], v[26:27], v[24:25]
	v_fma_f64 v[26:27], v[35:36], v[26:27], -v[28:29]
	v_add3_u32 v28, 0, v70, v69
	ds_load_b128 v[33:36], v28
	s_waitcnt vmcnt(0) lgkmcnt(0)
	v_mul_f64 v[28:29], v[35:36], v[39:40]
	v_mul_f64 v[30:31], v[33:34], v[39:40]
	s_delay_alu instid0(VALU_DEP_2) | instskip(NEXT) | instid1(VALU_DEP_2)
	v_fma_f64 v[28:29], v[33:34], v[37:38], v[28:29]
	v_fma_f64 v[30:31], v[35:36], v[37:38], -v[30:31]
	s_clause 0x1
	global_load_b128 v[34:37], v32, s[8:9] offset:304
	global_load_b128 v[38:41], v32, s[8:9] offset:320
	ds_load_b128 v[46:49], v64 offset:2912
	ds_load_b128 v[69:72], v126
	s_waitcnt vmcnt(1) lgkmcnt(1)
	v_mul_f64 v[32:33], v[48:49], v[36:37]
	v_mul_f64 v[36:37], v[46:47], v[36:37]
	s_delay_alu instid0(VALU_DEP_2) | instskip(NEXT) | instid1(VALU_DEP_2)
	v_fma_f64 v[32:33], v[46:47], v[34:35], v[32:33]
	v_fma_f64 v[34:35], v[48:49], v[34:35], -v[36:37]
	ds_load_b128 v[46:49], v64 offset:3328
	ds_load_b128 v[50:53], v64 offset:3744
	s_waitcnt vmcnt(0) lgkmcnt(0)
	s_waitcnt_vscnt null, 0x0
	s_barrier
	buffer_gl0_inv
	v_mul_f64 v[36:37], v[48:49], v[40:41]
	v_mul_f64 v[40:41], v[46:47], v[40:41]
	v_add_f64 v[166:167], v[28:29], v[32:33]
	v_add_f64 v[172:173], v[28:29], -v[32:33]
	s_delay_alu instid0(VALU_DEP_4) | instskip(NEXT) | instid1(VALU_DEP_4)
	v_fma_f64 v[36:37], v[46:47], v[38:39], v[36:37]
	v_fma_f64 v[38:39], v[48:49], v[38:39], -v[40:41]
	v_mul_f64 v[40:41], v[52:53], v[44:45]
	v_mul_f64 v[44:45], v[50:51], v[44:45]
	s_delay_alu instid0(VALU_DEP_4) | instskip(SKIP_1) | instid1(VALU_DEP_4)
	v_add_f64 v[154:155], v[24:25], v[36:37]
	v_add_f64 v[160:161], v[24:25], -v[36:37]
	v_fma_f64 v[40:41], v[50:51], v[42:43], v[40:41]
	s_delay_alu instid0(VALU_DEP_4) | instskip(SKIP_1) | instid1(VALU_DEP_3)
	v_fma_f64 v[42:43], v[52:53], v[42:43], -v[44:45]
	v_add_f64 v[44:45], v[73:74], -v[0:1]
	v_add_f64 v[148:149], v[20:21], -v[40:41]
	s_delay_alu instid0(VALU_DEP_3) | instskip(NEXT) | instid1(VALU_DEP_3)
	v_add_f64 v[144:145], v[22:23], -v[42:43]
	v_mul_f64 v[46:47], v[44:45], s[44:45]
	v_mul_f64 v[48:49], v[44:45], s[28:29]
	;; [unrolled: 1-line block ×6, first 2 shown]
	v_fma_f64 v[79:80], v[77:78], s[18:19], v[46:47]
	v_fma_f64 v[81:82], v[77:78], s[18:19], -v[46:47]
	v_fma_f64 v[83:84], v[77:78], s[14:15], v[48:49]
	v_fma_f64 v[85:86], v[77:78], s[14:15], -v[48:49]
	v_fma_f64 v[87:88], v[77:78], s[16:17], v[50:51]
	v_fma_f64 v[99:100], v[77:78], s[4:5], v[44:45]
	v_fma_f64 v[101:102], v[77:78], s[4:5], -v[44:45]
	v_add_f64 v[44:45], v[73:74], v[0:1]
	v_fma_f64 v[89:90], v[77:78], s[16:17], -v[50:51]
	v_fma_f64 v[91:92], v[77:78], s[12:13], v[52:53]
	v_fma_f64 v[93:94], v[77:78], s[12:13], -v[52:53]
	v_fma_f64 v[95:96], v[77:78], s[10:11], v[75:76]
	v_fma_f64 v[97:98], v[77:78], s[10:11], -v[75:76]
	v_add_f64 v[77:78], v[54:55], -v[2:3]
	v_add_f64 v[140:141], v[69:70], v[81:82]
	v_add_f64 v[125:126], v[69:70], v[83:84]
	;; [unrolled: 1-line block ×4, first 2 shown]
	v_mul_f64 v[46:47], v[44:45], s[18:19]
	v_mul_f64 v[48:49], v[44:45], s[14:15]
	;; [unrolled: 1-line block ×6, first 2 shown]
	v_add_f64 v[101:102], v[4:5], -v[8:9]
	v_add_f64 v[83:84], v[69:70], v[97:98]
	v_add_f64 v[97:98], v[69:70], v[99:100]
	v_fma_f64 v[103:104], v[77:78], s[40:41], v[46:47]
	v_fma_f64 v[105:106], v[77:78], s[44:45], v[46:47]
	;; [unrolled: 1-line block ×12, first 2 shown]
	v_add_f64 v[44:45], v[69:70], v[54:55]
	v_add_f64 v[46:47], v[71:72], v[73:74]
	;; [unrolled: 1-line block ×21, first 2 shown]
	v_mul_f64 v[71:72], v[101:102], s[28:29]
	v_add_f64 v[138:139], v[4:5], v[8:9]
	v_add_f64 v[4:5], v[46:47], v[4:5]
	s_delay_alu instid0(VALU_DEP_3) | instskip(NEXT) | instid1(VALU_DEP_3)
	v_fma_f64 v[89:90], v[69:70], s[14:15], -v[71:72]
	v_mul_f64 v[91:92], v[138:139], s[14:15]
	s_delay_alu instid0(VALU_DEP_3) | instskip(NEXT) | instid1(VALU_DEP_3)
	v_add_f64 v[4:5], v[4:5], v[12:13]
	v_add_f64 v[115:116], v[89:90], v[140:141]
	v_add_f64 v[89:90], v[6:7], -v[10:11]
	v_add_f64 v[140:141], v[12:13], -v[16:17]
	v_add_f64 v[6:7], v[44:45], v[6:7]
	v_add_f64 v[4:5], v[4:5], v[22:23]
	s_delay_alu instid0(VALU_DEP_4) | instskip(NEXT) | instid1(VALU_DEP_4)
	v_fma_f64 v[95:96], v[89:90], s[28:29], v[91:92]
	v_mul_f64 v[99:100], v[140:141], s[42:43]
	v_mul_f64 v[131:132], v[140:141], s[36:37]
	v_add_f64 v[6:7], v[6:7], v[14:15]
	v_add_f64 v[4:5], v[4:5], v[26:27]
	;; [unrolled: 1-line block ×7, first 2 shown]
	s_delay_alu instid0(VALU_DEP_4) | instskip(NEXT) | instid1(VALU_DEP_3)
	v_fma_f64 v[117:118], v[95:96], s[16:17], -v[99:100]
	v_add_f64 v[6:7], v[6:7], v[24:25]
	s_delay_alu instid0(VALU_DEP_3) | instskip(NEXT) | instid1(VALU_DEP_3)
	v_add_f64 v[4:5], v[4:5], v[34:35]
	v_add_f64 v[134:135], v[117:118], v[115:116]
	v_add_f64 v[115:116], v[14:15], -v[18:19]
	v_mul_f64 v[117:118], v[142:143], s[16:17]
	v_add_f64 v[6:7], v[6:7], v[28:29]
	v_add_f64 v[4:5], v[4:5], v[38:39]
	s_delay_alu instid0(VALU_DEP_3) | instskip(NEXT) | instid1(VALU_DEP_3)
	v_fma_f64 v[121:122], v[115:116], s[42:43], v[117:118]
	v_add_f64 v[6:7], v[6:7], v[32:33]
	s_delay_alu instid0(VALU_DEP_3) | instskip(NEXT) | instid1(VALU_DEP_3)
	v_add_f64 v[4:5], v[4:5], v[42:43]
	v_add_f64 v[136:137], v[121:122], v[119:120]
	;; [unrolled: 1-line block ×3, first 2 shown]
	v_mul_f64 v[121:122], v[144:145], s[22:23]
	v_add_f64 v[6:7], v[6:7], v[36:37]
	v_add_f64 v[4:5], v[4:5], v[16:17]
	s_delay_alu instid0(VALU_DEP_3) | instskip(NEXT) | instid1(VALU_DEP_3)
	v_fma_f64 v[146:147], v[119:120], s[12:13], -v[121:122]
	v_add_f64 v[6:7], v[6:7], v[40:41]
	s_delay_alu instid0(VALU_DEP_3) | instskip(NEXT) | instid1(VALU_DEP_3)
	v_add_f64 v[4:5], v[4:5], v[8:9]
                                        ; implicit-def: $vgpr8_vgpr9
	v_add_f64 v[134:135], v[146:147], v[134:135]
	v_add_f64 v[146:147], v[22:23], v[42:43]
	s_delay_alu instid0(VALU_DEP_4) | instskip(NEXT) | instid1(VALU_DEP_4)
	v_add_f64 v[6:7], v[6:7], v[18:19]
	v_add_f64 v[4:5], v[4:5], v[0:1]
	v_dual_mov_b32 v19, v59 :: v_dual_lshlrev_b32 v0, 4, v58
	s_delay_alu instid0(VALU_DEP_4) | instskip(NEXT) | instid1(VALU_DEP_4)
	v_mul_f64 v[150:151], v[146:147], s[12:13]
	v_add_f64 v[6:7], v[6:7], v[10:11]
	s_delay_alu instid0(VALU_DEP_3) | instskip(NEXT) | instid1(VALU_DEP_3)
	v_sub_nc_u32_e32 v10, v127, v0
	v_fma_f64 v[152:153], v[148:149], s[22:23], v[150:151]
	s_delay_alu instid0(VALU_DEP_3) | instskip(NEXT) | instid1(VALU_DEP_2)
	v_add_f64 v[2:3], v[6:7], v[2:3]
	v_add_f64 v[136:137], v[152:153], v[136:137]
	v_add_f64 v[152:153], v[26:27], -v[38:39]
	s_delay_alu instid0(VALU_DEP_1) | instskip(NEXT) | instid1(VALU_DEP_1)
	v_mul_f64 v[156:157], v[152:153], s[36:37]
	v_fma_f64 v[158:159], v[154:155], s[10:11], -v[156:157]
	s_delay_alu instid0(VALU_DEP_1) | instskip(SKIP_1) | instid1(VALU_DEP_1)
	v_add_f64 v[134:135], v[158:159], v[134:135]
	v_add_f64 v[158:159], v[26:27], v[38:39]
	v_mul_f64 v[162:163], v[158:159], s[10:11]
	s_delay_alu instid0(VALU_DEP_1) | instskip(NEXT) | instid1(VALU_DEP_1)
	v_fma_f64 v[164:165], v[160:161], s[36:37], v[162:163]
	v_add_f64 v[136:137], v[164:165], v[136:137]
	v_add_f64 v[164:165], v[30:31], -v[34:35]
	s_delay_alu instid0(VALU_DEP_1)
	v_mul_f64 v[168:169], v[164:165], s[24:25]
	v_mul_f64 v[194:195], v[164:165], s[40:41]
	;; [unrolled: 1-line block ×6, first 2 shown]
	v_fma_f64 v[170:171], v[166:167], s[4:5], -v[168:169]
	s_delay_alu instid0(VALU_DEP_1) | instskip(SKIP_1) | instid1(VALU_DEP_1)
	v_add_f64 v[134:135], v[170:171], v[134:135]
	v_add_f64 v[170:171], v[30:31], v[34:35]
	v_mul_f64 v[174:175], v[170:171], s[4:5]
	v_mul_f64 v[196:197], v[170:171], s[18:19]
	;; [unrolled: 1-line block ×6, first 2 shown]
	v_fma_f64 v[176:177], v[172:173], s[24:25], v[174:175]
	s_delay_alu instid0(VALU_DEP_1) | instskip(SKIP_1) | instid1(VALU_DEP_1)
	v_add_f64 v[136:137], v[176:177], v[136:137]
	v_mul_f64 v[176:177], v[101:102], s[22:23]
	v_fma_f64 v[178:179], v[69:70], s[12:13], v[176:177]
	s_delay_alu instid0(VALU_DEP_1) | instskip(SKIP_1) | instid1(VALU_DEP_1)
	v_add_f64 v[125:126], v[178:179], v[125:126]
	v_mul_f64 v[178:179], v[138:139], s[12:13]
	;; [unrolled: 4-line block ×8, first 2 shown]
	v_fma_f64 v[192:193], v[160:161], s[42:43], v[190:191]
	s_delay_alu instid0(VALU_DEP_1) | instskip(SKIP_1) | instid1(VALU_DEP_1)
	v_add_f64 v[192:193], v[192:193], v[123:124]
	v_fma_f64 v[123:124], v[166:167], s[18:19], v[194:195]
	v_add_f64 v[123:124], v[123:124], v[125:126]
	v_fma_f64 v[125:126], v[172:173], s[44:45], v[196:197]
	s_delay_alu instid0(VALU_DEP_1) | instskip(SKIP_3) | instid1(VALU_DEP_1)
	v_add_f64 v[125:126], v[125:126], v[192:193]
	v_mul_f64 v[192:193], v[101:102], s[24:25]
	ds_store_b128 v64, v[123:126] offset:832
	v_fma_f64 v[198:199], v[69:70], s[4:5], v[192:193]
	v_add_f64 v[113:114], v[198:199], v[113:114]
	v_mul_f64 v[198:199], v[138:139], s[4:5]
	s_delay_alu instid0(VALU_DEP_1) | instskip(NEXT) | instid1(VALU_DEP_1)
	v_fma_f64 v[200:201], v[89:90], s[20:21], v[198:199]
	v_add_f64 v[111:112], v[200:201], v[111:112]
	v_mul_f64 v[200:201], v[140:141], s[30:31]
	s_delay_alu instid0(VALU_DEP_1) | instskip(NEXT) | instid1(VALU_DEP_1)
	;; [unrolled: 4-line block ×7, first 2 shown]
	v_fma_f64 v[212:213], v[160:161], s[38:39], v[210:211]
	v_add_f64 v[212:213], v[212:213], v[111:112]
	v_fma_f64 v[111:112], v[166:167], s[10:11], v[214:215]
	s_delay_alu instid0(VALU_DEP_1) | instskip(SKIP_1) | instid1(VALU_DEP_1)
	v_add_f64 v[111:112], v[111:112], v[113:114]
	v_fma_f64 v[113:114], v[172:173], s[26:27], v[216:217]
	v_add_f64 v[113:114], v[113:114], v[212:213]
	v_mul_f64 v[212:213], v[101:102], s[26:27]
	s_delay_alu instid0(VALU_DEP_1) | instskip(NEXT) | instid1(VALU_DEP_1)
	v_fma_f64 v[218:219], v[69:70], s[10:11], v[212:213]
	v_add_f64 v[109:110], v[218:219], v[109:110]
	v_mul_f64 v[218:219], v[138:139], s[10:11]
	s_delay_alu instid0(VALU_DEP_1) | instskip(NEXT) | instid1(VALU_DEP_1)
	v_fma_f64 v[220:221], v[89:90], s[36:37], v[218:219]
	v_add_f64 v[107:108], v[220:221], v[107:108]
	v_mul_f64 v[220:221], v[140:141], s[40:41]
	s_delay_alu instid0(VALU_DEP_1) | instskip(NEXT) | instid1(VALU_DEP_1)
	v_fma_f64 v[222:223], v[95:96], s[18:19], v[220:221]
	v_add_f64 v[109:110], v[222:223], v[109:110]
	v_mul_f64 v[222:223], v[142:143], s[18:19]
	s_delay_alu instid0(VALU_DEP_1) | instskip(NEXT) | instid1(VALU_DEP_1)
	v_fma_f64 v[224:225], v[115:116], s[44:45], v[222:223]
	v_add_f64 v[107:108], v[224:225], v[107:108]
	v_mul_f64 v[224:225], v[144:145], s[42:43]
	s_delay_alu instid0(VALU_DEP_1) | instskip(NEXT) | instid1(VALU_DEP_1)
	v_fma_f64 v[226:227], v[119:120], s[16:17], v[224:225]
	v_add_f64 v[109:110], v[226:227], v[109:110]
	v_mul_f64 v[226:227], v[146:147], s[16:17]
	s_delay_alu instid0(VALU_DEP_1) | instskip(NEXT) | instid1(VALU_DEP_1)
	v_fma_f64 v[228:229], v[148:149], s[34:35], v[226:227]
	v_add_f64 v[107:108], v[228:229], v[107:108]
	v_mul_f64 v[228:229], v[152:153], s[20:21]
	s_delay_alu instid0(VALU_DEP_1) | instskip(NEXT) | instid1(VALU_DEP_1)
	v_fma_f64 v[230:231], v[154:155], s[4:5], v[228:229]
	v_add_f64 v[109:110], v[230:231], v[109:110]
	v_mul_f64 v[230:231], v[158:159], s[4:5]
	s_delay_alu instid0(VALU_DEP_1) | instskip(NEXT) | instid1(VALU_DEP_1)
	v_fma_f64 v[232:233], v[160:161], s[24:25], v[230:231]
	v_add_f64 v[232:233], v[232:233], v[107:108]
	v_fma_f64 v[107:108], v[166:167], s[14:15], v[234:235]
	s_delay_alu instid0(VALU_DEP_1) | instskip(SKIP_1) | instid1(VALU_DEP_1)
	v_add_f64 v[107:108], v[107:108], v[109:110]
	v_fma_f64 v[109:110], v[172:173], s[28:29], v[236:237]
	v_add_f64 v[109:110], v[109:110], v[232:233]
	v_mul_f64 v[232:233], v[101:102], s[34:35]
	v_mul_f64 v[101:102], v[101:102], s[40:41]
	s_delay_alu instid0(VALU_DEP_2) | instskip(NEXT) | instid1(VALU_DEP_1)
	v_fma_f64 v[238:239], v[69:70], s[16:17], v[232:233]
	v_add_f64 v[105:106], v[238:239], v[105:106]
	v_mul_f64 v[238:239], v[138:139], s[16:17]
	s_delay_alu instid0(VALU_DEP_1) | instskip(NEXT) | instid1(VALU_DEP_1)
	v_fma_f64 v[240:241], v[89:90], s[42:43], v[238:239]
	v_add_f64 v[103:104], v[240:241], v[103:104]
	v_mul_f64 v[240:241], v[140:141], s[28:29]
	s_delay_alu instid0(VALU_DEP_1) | instskip(NEXT) | instid1(VALU_DEP_1)
	v_fma_f64 v[242:243], v[95:96], s[14:15], v[240:241]
	v_add_f64 v[105:106], v[242:243], v[105:106]
	v_mul_f64 v[242:243], v[142:143], s[14:15]
	v_mul_f64 v[142:143], v[142:143], s[10:11]
	s_delay_alu instid0(VALU_DEP_2) | instskip(NEXT) | instid1(VALU_DEP_1)
	v_fma_f64 v[244:245], v[115:116], s[38:39], v[242:243]
	v_add_f64 v[103:104], v[244:245], v[103:104]
	v_mul_f64 v[244:245], v[144:145], s[20:21]
	v_mul_f64 v[144:145], v[144:145], s[38:39]
	s_delay_alu instid0(VALU_DEP_2) | instskip(NEXT) | instid1(VALU_DEP_1)
	;; [unrolled: 5-line block ×5, first 2 shown]
	v_fma_f64 v[252:253], v[160:161], s[44:45], v[250:251]
	v_add_f64 v[252:253], v[252:253], v[103:104]
	v_fma_f64 v[103:104], v[166:167], s[12:13], v[254:255]
	s_delay_alu instid0(VALU_DEP_1) | instskip(SKIP_1) | instid1(VALU_DEP_1)
	v_add_f64 v[103:104], v[103:104], v[105:106]
	v_fma_f64 v[105:106], v[172:173], s[30:31], v[129:130]
	v_add_f64 v[105:106], v[105:106], v[252:253]
	v_fma_f64 v[252:253], v[69:70], s[18:19], v[101:102]
	s_delay_alu instid0(VALU_DEP_1) | instskip(SKIP_1) | instid1(VALU_DEP_1)
	v_add_f64 v[97:98], v[252:253], v[97:98]
	v_mul_f64 v[252:253], v[138:139], s[18:19]
	v_fma_f64 v[138:139], v[89:90], s[44:45], v[252:253]
	s_delay_alu instid0(VALU_DEP_1) | instskip(SKIP_1) | instid1(VALU_DEP_1)
	v_add_f64 v[93:94], v[138:139], v[93:94]
	v_fma_f64 v[138:139], v[95:96], s[10:11], v[131:132]
	v_add_f64 v[97:98], v[138:139], v[97:98]
	v_fma_f64 v[138:139], v[115:116], s[26:27], v[142:143]
	s_delay_alu instid0(VALU_DEP_1) | instskip(SKIP_1) | instid1(VALU_DEP_1)
	v_add_f64 v[93:94], v[138:139], v[93:94]
	v_fma_f64 v[138:139], v[119:120], s[14:15], v[144:145]
	v_add_f64 v[97:98], v[138:139], v[97:98]
	;; [unrolled: 5-line block ×4, first 2 shown]
	v_fma_f64 v[97:98], v[172:173], s[42:43], v[170:171]
	s_delay_alu instid0(VALU_DEP_1) | instskip(SKIP_2) | instid1(VALU_DEP_2)
	v_add_f64 v[140:141], v[97:98], v[93:94]
	v_fma_f64 v[93:94], v[69:70], s[18:19], -v[101:102]
	v_fma_f64 v[97:98], v[172:173], s[34:35], v[170:171]
	v_add_f64 v[87:88], v[93:94], v[87:88]
	v_fma_f64 v[93:94], v[89:90], s[40:41], v[252:253]
	s_delay_alu instid0(VALU_DEP_1) | instskip(SKIP_1) | instid1(VALU_DEP_1)
	v_add_f64 v[85:86], v[93:94], v[85:86]
	v_fma_f64 v[93:94], v[95:96], s[10:11], -v[131:132]
	v_add_f64 v[87:88], v[93:94], v[87:88]
	v_fma_f64 v[93:94], v[115:116], s[36:37], v[142:143]
	s_delay_alu instid0(VALU_DEP_1) | instskip(SKIP_1) | instid1(VALU_DEP_1)
	v_add_f64 v[85:86], v[93:94], v[85:86]
	v_fma_f64 v[93:94], v[119:120], s[14:15], -v[144:145]
	v_add_f64 v[87:88], v[93:94], v[87:88]
	v_fma_f64 v[93:94], v[148:149], s[38:39], v[146:147]
	s_delay_alu instid0(VALU_DEP_1) | instskip(SKIP_1) | instid1(VALU_DEP_1)
	v_add_f64 v[85:86], v[93:94], v[85:86]
	v_fma_f64 v[93:94], v[154:155], s[12:13], -v[152:153]
	v_add_f64 v[87:88], v[93:94], v[87:88]
	v_fma_f64 v[93:94], v[160:161], s[22:23], v[158:159]
	s_delay_alu instid0(VALU_DEP_1) | instskip(SKIP_1) | instid1(VALU_DEP_1)
	v_add_f64 v[93:94], v[93:94], v[85:86]
	v_fma_f64 v[85:86], v[166:167], s[16:17], -v[164:165]
	v_add_f64 v[85:86], v[85:86], v[87:88]
	s_delay_alu instid0(VALU_DEP_3) | instskip(SKIP_2) | instid1(VALU_DEP_2)
	v_add_f64 v[87:88], v[97:98], v[93:94]
	v_fma_f64 v[93:94], v[69:70], s[16:17], -v[232:233]
	v_fma_f64 v[97:98], v[172:173], s[22:23], v[129:130]
	v_add_f64 v[83:84], v[93:94], v[83:84]
	v_fma_f64 v[93:94], v[89:90], s[34:35], v[238:239]
	s_delay_alu instid0(VALU_DEP_1) | instskip(SKIP_1) | instid1(VALU_DEP_1)
	v_add_f64 v[81:82], v[93:94], v[81:82]
	v_fma_f64 v[93:94], v[95:96], s[14:15], -v[240:241]
	v_add_f64 v[83:84], v[93:94], v[83:84]
	v_fma_f64 v[93:94], v[115:116], s[28:29], v[242:243]
	s_delay_alu instid0(VALU_DEP_1) | instskip(SKIP_1) | instid1(VALU_DEP_1)
	v_add_f64 v[81:82], v[93:94], v[81:82]
	v_fma_f64 v[93:94], v[119:120], s[4:5], -v[244:245]
	v_add_f64 v[83:84], v[93:94], v[83:84]
	v_fma_f64 v[93:94], v[148:149], s[20:21], v[246:247]
	s_delay_alu instid0(VALU_DEP_1) | instskip(SKIP_1) | instid1(VALU_DEP_1)
	v_add_f64 v[81:82], v[93:94], v[81:82]
	v_fma_f64 v[93:94], v[154:155], s[18:19], -v[248:249]
	v_add_f64 v[83:84], v[93:94], v[83:84]
	v_fma_f64 v[93:94], v[160:161], s[40:41], v[250:251]
	s_delay_alu instid0(VALU_DEP_1) | instskip(SKIP_1) | instid1(VALU_DEP_1)
	v_add_f64 v[93:94], v[93:94], v[81:82]
	v_fma_f64 v[81:82], v[166:167], s[12:13], -v[254:255]
	v_add_f64 v[81:82], v[81:82], v[83:84]
	s_delay_alu instid0(VALU_DEP_3) | instskip(SKIP_2) | instid1(VALU_DEP_2)
	;; [unrolled: 25-line block ×3, first 2 shown]
	v_add_f64 v[79:80], v[97:98], v[93:94]
	v_fma_f64 v[93:94], v[69:70], s[4:5], -v[192:193]
	v_fma_f64 v[97:98], v[172:173], s[36:37], v[216:217]
	v_add_f64 v[75:76], v[93:94], v[75:76]
	v_fma_f64 v[93:94], v[89:90], s[24:25], v[198:199]
	s_delay_alu instid0(VALU_DEP_1) | instskip(SKIP_1) | instid1(VALU_DEP_1)
	v_add_f64 v[73:74], v[93:94], v[73:74]
	v_fma_f64 v[93:94], v[95:96], s[12:13], -v[200:201]
	v_add_f64 v[75:76], v[93:94], v[75:76]
	v_fma_f64 v[93:94], v[115:116], s[30:31], v[202:203]
	s_delay_alu instid0(VALU_DEP_1) | instskip(SKIP_1) | instid1(VALU_DEP_1)
	v_add_f64 v[73:74], v[93:94], v[73:74]
	v_fma_f64 v[93:94], v[119:120], s[18:19], -v[204:205]
	;; [unrolled: 5-line block ×4, first 2 shown]
	v_add_f64 v[73:74], v[73:74], v[75:76]
	s_delay_alu instid0(VALU_DEP_3)
	v_add_f64 v[75:76], v[97:98], v[93:94]
	v_fma_f64 v[93:94], v[69:70], s[12:13], -v[176:177]
	v_fma_f64 v[69:70], v[69:70], s[14:15], v[71:72]
	v_fma_f64 v[71:72], v[89:90], s[38:39], v[91:92]
	;; [unrolled: 1-line block ×4, first 2 shown]
	v_add_f64 v[54:55], v[93:94], v[54:55]
	v_fma_f64 v[93:94], v[89:90], s[22:23], v[178:179]
	v_fma_f64 v[89:90], v[95:96], s[16:17], v[99:100]
	v_add_f64 v[48:49], v[69:70], v[48:49]
	v_add_f64 v[50:51], v[71:72], v[50:51]
	v_fma_f64 v[69:70], v[119:120], s[12:13], v[121:122]
	v_fma_f64 v[71:72], v[148:149], s[30:31], v[150:151]
	v_add_f64 v[52:53], v[93:94], v[52:53]
	v_fma_f64 v[93:94], v[95:96], s[4:5], -v[180:181]
	v_add_f64 v[48:49], v[89:90], v[48:49]
	v_add_f64 v[50:51], v[91:92], v[50:51]
	v_fma_f64 v[89:90], v[154:155], s[10:11], v[156:157]
	v_fma_f64 v[91:92], v[160:161], s[26:27], v[162:163]
	v_add_f64 v[54:55], v[93:94], v[54:55]
	v_fma_f64 v[93:94], v[115:116], s[24:25], v[182:183]
	v_add_f64 v[48:49], v[69:70], v[48:49]
	v_add_f64 v[50:51], v[71:72], v[50:51]
	v_fma_f64 v[69:70], v[166:167], s[4:5], v[168:169]
	v_fma_f64 v[71:72], v[172:173], s[20:21], v[174:175]
	s_add_u32 s4, s8, 0x1450
	s_addc_u32 s5, s9, 0
	s_mov_b32 s8, exec_lo
	v_add_f64 v[52:53], v[93:94], v[52:53]
	v_fma_f64 v[93:94], v[119:120], s[10:11], -v[184:185]
	v_add_f64 v[48:49], v[89:90], v[48:49]
	v_add_f64 v[50:51], v[91:92], v[50:51]
	s_delay_alu instid0(VALU_DEP_3) | instskip(SKIP_1) | instid1(VALU_DEP_4)
	v_add_f64 v[54:55], v[93:94], v[54:55]
	v_fma_f64 v[93:94], v[148:149], s[26:27], v[186:187]
	v_add_f64 v[48:49], v[69:70], v[48:49]
	s_delay_alu instid0(VALU_DEP_4) | instskip(NEXT) | instid1(VALU_DEP_3)
	v_add_f64 v[50:51], v[71:72], v[50:51]
	v_add_f64 v[52:53], v[93:94], v[52:53]
	v_fma_f64 v[93:94], v[154:155], s[16:17], -v[188:189]
	s_delay_alu instid0(VALU_DEP_1) | instskip(SKIP_1) | instid1(VALU_DEP_1)
	v_add_f64 v[54:55], v[93:94], v[54:55]
	v_fma_f64 v[93:94], v[160:161], s[34:35], v[190:191]
	v_add_f64 v[93:94], v[93:94], v[52:53]
	v_fma_f64 v[52:53], v[166:167], s[18:19], -v[194:195]
	s_delay_alu instid0(VALU_DEP_1) | instskip(NEXT) | instid1(VALU_DEP_3)
	v_add_f64 v[52:53], v[52:53], v[54:55]
	v_add_f64 v[54:55], v[97:98], v[93:94]
	ds_store_b128 v64, v[111:114] offset:1248
	ds_store_b128 v64, v[107:110] offset:1664
	;; [unrolled: 1-line block ×11, first 2 shown]
	ds_store_b128 v64, v[2:5]
	s_waitcnt lgkmcnt(0)
	s_barrier
	buffer_gl0_inv
	ds_load_b128 v[4:7], v59
                                        ; implicit-def: $vgpr2_vgpr3
	v_cmpx_ne_u32_e32 0, v58
	s_xor_b32 s8, exec_lo, s8
	s_cbranch_execz .LBB0_19
; %bb.18:
	v_mov_b32_e32 v59, 0
	s_delay_alu instid0(VALU_DEP_1) | instskip(NEXT) | instid1(VALU_DEP_1)
	v_lshlrev_b64 v[0:1], 4, v[58:59]
	v_add_co_u32 v0, s1, s4, v0
	s_delay_alu instid0(VALU_DEP_1)
	v_add_co_ci_u32_e64 v1, s1, s5, v1, s1
	global_load_b128 v[11:14], v[0:1], off
	ds_load_b128 v[0:3], v10 offset:5408
	s_waitcnt lgkmcnt(0)
	v_add_f64 v[8:9], v[4:5], -v[0:1]
	v_add_f64 v[15:16], v[6:7], v[2:3]
	v_add_f64 v[2:3], v[6:7], -v[2:3]
	v_add_f64 v[0:1], v[4:5], v[0:1]
	s_delay_alu instid0(VALU_DEP_4) | instskip(NEXT) | instid1(VALU_DEP_4)
	v_mul_f64 v[6:7], v[8:9], 0.5
	v_mul_f64 v[4:5], v[15:16], 0.5
	s_delay_alu instid0(VALU_DEP_4) | instskip(SKIP_1) | instid1(VALU_DEP_3)
	v_mul_f64 v[2:3], v[2:3], 0.5
	s_waitcnt vmcnt(0)
	v_mul_f64 v[8:9], v[6:7], v[13:14]
	s_delay_alu instid0(VALU_DEP_2) | instskip(SKIP_1) | instid1(VALU_DEP_3)
	v_fma_f64 v[15:16], v[4:5], v[13:14], v[2:3]
	v_fma_f64 v[2:3], v[4:5], v[13:14], -v[2:3]
	v_fma_f64 v[17:18], v[0:1], 0.5, v[8:9]
	v_fma_f64 v[0:1], v[0:1], 0.5, -v[8:9]
	s_delay_alu instid0(VALU_DEP_4) | instskip(NEXT) | instid1(VALU_DEP_4)
	v_fma_f64 v[8:9], -v[11:12], v[6:7], v[15:16]
	v_fma_f64 v[2:3], -v[11:12], v[6:7], v[2:3]
	s_delay_alu instid0(VALU_DEP_4) | instskip(NEXT) | instid1(VALU_DEP_4)
	v_fma_f64 v[13:14], v[4:5], v[11:12], v[17:18]
	v_fma_f64 v[0:1], -v[4:5], v[11:12], v[0:1]
                                        ; implicit-def: $vgpr4_vgpr5
	ds_store_b64 v19, v[13:14]
.LBB0_19:
	s_and_not1_saveexec_b32 s1, s8
	s_cbranch_execz .LBB0_21
; %bb.20:
	s_waitcnt lgkmcnt(0)
	v_add_f64 v[11:12], v[4:5], v[6:7]
	v_add_f64 v[0:1], v[4:5], -v[6:7]
	ds_load_b64 v[4:5], v127 offset:2712
	v_mov_b32_e32 v8, 0
	v_mov_b32_e32 v9, 0
	s_delay_alu instid0(VALU_DEP_1)
	v_dual_mov_b32 v2, v8 :: v_dual_mov_b32 v3, v9
	s_waitcnt lgkmcnt(0)
	v_xor_b32_e32 v5, 0x80000000, v5
	ds_store_b64 v19, v[11:12]
	ds_store_b64 v127, v[4:5] offset:2712
.LBB0_21:
	s_or_b32 exec_lo, exec_lo, s1
	v_mov_b32_e32 v64, 0
	s_waitcnt lgkmcnt(0)
	s_delay_alu instid0(VALU_DEP_1) | instskip(SKIP_1) | instid1(VALU_DEP_1)
	v_lshlrev_b64 v[4:5], 4, v[63:64]
	v_mov_b32_e32 v69, v64
	v_lshlrev_b64 v[11:12], 4, v[68:69]
	s_delay_alu instid0(VALU_DEP_3) | instskip(NEXT) | instid1(VALU_DEP_1)
	v_add_co_u32 v4, s1, s4, v4
	v_add_co_ci_u32_e64 v5, s1, s5, v5, s1
	v_mov_b32_e32 v68, v64
	s_delay_alu instid0(VALU_DEP_4)
	v_add_co_u32 v11, s1, s4, v11
	global_load_b128 v[4:7], v[4:5], off
	v_add_co_ci_u32_e64 v12, s1, s5, v12, s1
	global_load_b128 v[11:14], v[11:12], off
	ds_store_b64 v19, v[8:9] offset:8
	ds_store_b128 v10, v[0:3] offset:5408
	ds_load_b128 v[0:3], v133
	ds_load_b128 v[15:18], v10 offset:4992
	s_waitcnt lgkmcnt(0)
	v_add_f64 v[8:9], v[0:1], -v[15:16]
	v_add_f64 v[19:20], v[2:3], v[17:18]
	v_add_f64 v[2:3], v[2:3], -v[17:18]
	v_add_f64 v[0:1], v[0:1], v[15:16]
	s_delay_alu instid0(VALU_DEP_4) | instskip(NEXT) | instid1(VALU_DEP_4)
	v_mul_f64 v[8:9], v[8:9], 0.5
	v_mul_f64 v[17:18], v[19:20], 0.5
	s_delay_alu instid0(VALU_DEP_4) | instskip(SKIP_1) | instid1(VALU_DEP_3)
	v_mul_f64 v[2:3], v[2:3], 0.5
	s_waitcnt vmcnt(1)
	v_mul_f64 v[15:16], v[8:9], v[6:7]
	s_delay_alu instid0(VALU_DEP_2) | instskip(SKIP_1) | instid1(VALU_DEP_3)
	v_fma_f64 v[19:20], v[17:18], v[6:7], v[2:3]
	v_fma_f64 v[6:7], v[17:18], v[6:7], -v[2:3]
	v_fma_f64 v[21:22], v[0:1], 0.5, v[15:16]
	v_fma_f64 v[15:16], v[0:1], 0.5, -v[15:16]
	s_delay_alu instid0(VALU_DEP_4) | instskip(NEXT) | instid1(VALU_DEP_4)
	v_fma_f64 v[2:3], -v[4:5], v[8:9], v[19:20]
	v_fma_f64 v[6:7], -v[4:5], v[8:9], v[6:7]
	v_lshlrev_b64 v[8:9], 4, v[67:68]
	v_mov_b32_e32 v67, v64
	s_delay_alu instid0(VALU_DEP_2) | instskip(NEXT) | instid1(VALU_DEP_1)
	v_add_co_u32 v8, s1, s4, v8
	v_add_co_ci_u32_e64 v9, s1, s5, v9, s1
	v_fma_f64 v[0:1], v[17:18], v[4:5], v[21:22]
	v_fma_f64 v[4:5], -v[17:18], v[4:5], v[15:16]
	global_load_b128 v[15:18], v[8:9], off
	ds_store_b128 v133, v[0:3]
	ds_store_b128 v10, v[4:7] offset:4992
	ds_load_b128 v[0:3], v128
	ds_load_b128 v[4:7], v10 offset:4576
	s_waitcnt lgkmcnt(0)
	v_add_f64 v[8:9], v[0:1], -v[4:5]
	v_add_f64 v[19:20], v[2:3], v[6:7]
	v_add_f64 v[2:3], v[2:3], -v[6:7]
	v_add_f64 v[0:1], v[0:1], v[4:5]
	s_delay_alu instid0(VALU_DEP_4) | instskip(NEXT) | instid1(VALU_DEP_4)
	v_mul_f64 v[6:7], v[8:9], 0.5
	v_mul_f64 v[8:9], v[19:20], 0.5
	s_delay_alu instid0(VALU_DEP_4) | instskip(SKIP_1) | instid1(VALU_DEP_3)
	v_mul_f64 v[2:3], v[2:3], 0.5
	s_waitcnt vmcnt(1)
	v_mul_f64 v[4:5], v[6:7], v[13:14]
	s_delay_alu instid0(VALU_DEP_2) | instskip(SKIP_1) | instid1(VALU_DEP_3)
	v_fma_f64 v[19:20], v[8:9], v[13:14], v[2:3]
	v_fma_f64 v[13:14], v[8:9], v[13:14], -v[2:3]
	v_fma_f64 v[21:22], v[0:1], 0.5, v[4:5]
	v_fma_f64 v[4:5], v[0:1], 0.5, -v[4:5]
	s_delay_alu instid0(VALU_DEP_4) | instskip(NEXT) | instid1(VALU_DEP_4)
	v_fma_f64 v[2:3], -v[11:12], v[6:7], v[19:20]
	v_fma_f64 v[6:7], -v[11:12], v[6:7], v[13:14]
	s_delay_alu instid0(VALU_DEP_4) | instskip(NEXT) | instid1(VALU_DEP_4)
	v_fma_f64 v[0:1], v[8:9], v[11:12], v[21:22]
	v_fma_f64 v[4:5], -v[8:9], v[11:12], v[4:5]
	v_lshlrev_b64 v[8:9], 4, v[66:67]
	v_mov_b32_e32 v66, v64
	s_delay_alu instid0(VALU_DEP_2) | instskip(NEXT) | instid1(VALU_DEP_1)
	v_add_co_u32 v8, s1, s4, v8
	v_add_co_ci_u32_e64 v9, s1, s5, v9, s1
	global_load_b128 v[11:14], v[8:9], off
	ds_store_b128 v128, v[0:3]
	ds_store_b128 v10, v[4:7] offset:4576
	scratch_load_b32 v23, off, off offset:8 ; 4-byte Folded Reload
	s_waitcnt vmcnt(0)
	ds_load_b128 v[0:3], v23
	ds_load_b128 v[4:7], v10 offset:4160
	s_waitcnt lgkmcnt(0)
	v_add_f64 v[8:9], v[0:1], -v[4:5]
	v_add_f64 v[19:20], v[2:3], v[6:7]
	v_add_f64 v[2:3], v[2:3], -v[6:7]
	v_add_f64 v[0:1], v[0:1], v[4:5]
	s_delay_alu instid0(VALU_DEP_4) | instskip(NEXT) | instid1(VALU_DEP_4)
	v_mul_f64 v[6:7], v[8:9], 0.5
	v_mul_f64 v[8:9], v[19:20], 0.5
	s_delay_alu instid0(VALU_DEP_4) | instskip(NEXT) | instid1(VALU_DEP_3)
	v_mul_f64 v[2:3], v[2:3], 0.5
	v_mul_f64 v[4:5], v[6:7], v[17:18]
	s_delay_alu instid0(VALU_DEP_2) | instskip(SKIP_1) | instid1(VALU_DEP_3)
	v_fma_f64 v[19:20], v[8:9], v[17:18], v[2:3]
	v_fma_f64 v[17:18], v[8:9], v[17:18], -v[2:3]
	v_fma_f64 v[21:22], v[0:1], 0.5, v[4:5]
	v_fma_f64 v[4:5], v[0:1], 0.5, -v[4:5]
	s_delay_alu instid0(VALU_DEP_4) | instskip(NEXT) | instid1(VALU_DEP_4)
	v_fma_f64 v[2:3], -v[15:16], v[6:7], v[19:20]
	v_fma_f64 v[6:7], -v[15:16], v[6:7], v[17:18]
	s_delay_alu instid0(VALU_DEP_4) | instskip(NEXT) | instid1(VALU_DEP_4)
	v_fma_f64 v[0:1], v[8:9], v[15:16], v[21:22]
	v_fma_f64 v[4:5], -v[8:9], v[15:16], v[4:5]
	v_lshlrev_b64 v[8:9], 4, v[65:66]
	s_delay_alu instid0(VALU_DEP_1) | instskip(NEXT) | instid1(VALU_DEP_1)
	v_add_co_u32 v8, s1, s4, v8
	v_add_co_ci_u32_e64 v9, s1, s5, v9, s1
	global_load_b128 v[15:18], v[8:9], off
	ds_store_b128 v23, v[0:3]
	ds_store_b128 v10, v[4:7] offset:4160
	scratch_load_b32 v23, off, off offset:4 ; 4-byte Folded Reload
	s_waitcnt vmcnt(0)
	ds_load_b128 v[0:3], v23
	ds_load_b128 v[4:7], v10 offset:3744
	s_waitcnt lgkmcnt(0)
	v_add_f64 v[8:9], v[0:1], -v[4:5]
	v_add_f64 v[19:20], v[2:3], v[6:7]
	v_add_f64 v[2:3], v[2:3], -v[6:7]
	v_add_f64 v[0:1], v[0:1], v[4:5]
	s_delay_alu instid0(VALU_DEP_4) | instskip(NEXT) | instid1(VALU_DEP_4)
	v_mul_f64 v[6:7], v[8:9], 0.5
	v_mul_f64 v[8:9], v[19:20], 0.5
	s_delay_alu instid0(VALU_DEP_4) | instskip(NEXT) | instid1(VALU_DEP_3)
	v_mul_f64 v[2:3], v[2:3], 0.5
	v_mul_f64 v[4:5], v[6:7], v[13:14]
	s_delay_alu instid0(VALU_DEP_2) | instskip(SKIP_1) | instid1(VALU_DEP_3)
	v_fma_f64 v[19:20], v[8:9], v[13:14], v[2:3]
	v_fma_f64 v[13:14], v[8:9], v[13:14], -v[2:3]
	v_fma_f64 v[21:22], v[0:1], 0.5, v[4:5]
	v_fma_f64 v[4:5], v[0:1], 0.5, -v[4:5]
	s_delay_alu instid0(VALU_DEP_4) | instskip(NEXT) | instid1(VALU_DEP_4)
	v_fma_f64 v[2:3], -v[11:12], v[6:7], v[19:20]
	v_fma_f64 v[6:7], -v[11:12], v[6:7], v[13:14]
	s_delay_alu instid0(VALU_DEP_4) | instskip(NEXT) | instid1(VALU_DEP_4)
	v_fma_f64 v[0:1], v[8:9], v[11:12], v[21:22]
	v_fma_f64 v[4:5], -v[8:9], v[11:12], v[4:5]
	ds_store_b128 v23, v[0:3]
	ds_store_b128 v10, v[4:7] offset:3744
	scratch_load_b32 v19, off, off          ; 4-byte Folded Reload
	s_waitcnt vmcnt(0)
	ds_load_b128 v[0:3], v19
	ds_load_b128 v[4:7], v10 offset:3328
	s_waitcnt lgkmcnt(0)
	v_add_f64 v[8:9], v[0:1], -v[4:5]
	v_add_f64 v[11:12], v[2:3], v[6:7]
	v_add_f64 v[2:3], v[2:3], -v[6:7]
	v_add_f64 v[0:1], v[0:1], v[4:5]
	s_delay_alu instid0(VALU_DEP_4) | instskip(NEXT) | instid1(VALU_DEP_4)
	v_mul_f64 v[6:7], v[8:9], 0.5
	v_mul_f64 v[8:9], v[11:12], 0.5
	s_delay_alu instid0(VALU_DEP_4) | instskip(NEXT) | instid1(VALU_DEP_3)
	v_mul_f64 v[2:3], v[2:3], 0.5
	v_mul_f64 v[4:5], v[6:7], v[17:18]
	s_delay_alu instid0(VALU_DEP_2) | instskip(SKIP_1) | instid1(VALU_DEP_3)
	v_fma_f64 v[11:12], v[8:9], v[17:18], v[2:3]
	v_fma_f64 v[13:14], v[8:9], v[17:18], -v[2:3]
	v_fma_f64 v[17:18], v[0:1], 0.5, v[4:5]
	v_fma_f64 v[4:5], v[0:1], 0.5, -v[4:5]
	s_delay_alu instid0(VALU_DEP_4) | instskip(NEXT) | instid1(VALU_DEP_4)
	v_fma_f64 v[2:3], -v[15:16], v[6:7], v[11:12]
	v_fma_f64 v[6:7], -v[15:16], v[6:7], v[13:14]
	s_delay_alu instid0(VALU_DEP_4) | instskip(NEXT) | instid1(VALU_DEP_4)
	v_fma_f64 v[0:1], v[8:9], v[15:16], v[17:18]
	v_fma_f64 v[4:5], -v[8:9], v[15:16], v[4:5]
	ds_store_b128 v19, v[0:3]
	ds_store_b128 v10, v[4:7] offset:3328
	s_and_saveexec_b32 s1, s0
	s_cbranch_execz .LBB0_23
; %bb.22:
	v_mov_b32_e32 v63, v64
	v_lshl_add_u32 v17, v62, 4, v127
	s_delay_alu instid0(VALU_DEP_2) | instskip(NEXT) | instid1(VALU_DEP_1)
	v_lshlrev_b64 v[0:1], 4, v[62:63]
	v_add_co_u32 v0, s0, s4, v0
	s_delay_alu instid0(VALU_DEP_1)
	v_add_co_ci_u32_e64 v1, s0, s5, v1, s0
	global_load_b128 v[0:3], v[0:1], off
	ds_load_b128 v[4:7], v17
	ds_load_b128 v[11:14], v10 offset:2912
	s_waitcnt lgkmcnt(0)
	v_add_f64 v[8:9], v[4:5], -v[11:12]
	v_add_f64 v[15:16], v[6:7], v[13:14]
	v_add_f64 v[6:7], v[6:7], -v[13:14]
	v_add_f64 v[4:5], v[4:5], v[11:12]
	s_delay_alu instid0(VALU_DEP_4) | instskip(NEXT) | instid1(VALU_DEP_4)
	v_mul_f64 v[8:9], v[8:9], 0.5
	v_mul_f64 v[13:14], v[15:16], 0.5
	s_delay_alu instid0(VALU_DEP_4) | instskip(SKIP_1) | instid1(VALU_DEP_3)
	v_mul_f64 v[6:7], v[6:7], 0.5
	s_waitcnt vmcnt(0)
	v_mul_f64 v[11:12], v[8:9], v[2:3]
	s_delay_alu instid0(VALU_DEP_2) | instskip(SKIP_1) | instid1(VALU_DEP_3)
	v_fma_f64 v[15:16], v[13:14], v[2:3], v[6:7]
	v_fma_f64 v[2:3], v[13:14], v[2:3], -v[6:7]
	v_fma_f64 v[6:7], v[4:5], 0.5, v[11:12]
	v_fma_f64 v[11:12], v[4:5], 0.5, -v[11:12]
	s_delay_alu instid0(VALU_DEP_4) | instskip(NEXT) | instid1(VALU_DEP_4)
	v_fma_f64 v[4:5], -v[0:1], v[8:9], v[15:16]
	v_fma_f64 v[8:9], -v[0:1], v[8:9], v[2:3]
	s_delay_alu instid0(VALU_DEP_4) | instskip(NEXT) | instid1(VALU_DEP_4)
	v_fma_f64 v[2:3], v[13:14], v[0:1], v[6:7]
	v_fma_f64 v[6:7], -v[13:14], v[0:1], v[11:12]
	ds_store_b128 v17, v[2:5]
	ds_store_b128 v10, v[6:9] offset:2912
.LBB0_23:
	s_or_b32 exec_lo, exec_lo, s1
	s_waitcnt lgkmcnt(0)
	s_barrier
	buffer_gl0_inv
	s_and_saveexec_b32 s0, vcc_lo
	s_cbranch_execz .LBB0_26
; %bb.24:
	v_mul_lo_u32 v3, s3, v60
	v_mul_lo_u32 v4, s2, v61
	v_mad_u64_u32 v[1:2], null, s2, v60, 0
	v_mov_b32_e32 v59, 0
	v_lshlrev_b64 v[11:12], 4, v[56:57]
	v_lshl_add_u32 v0, v58, 4, v127
	v_add_nc_u32_e32 v13, 26, v58
	s_delay_alu instid0(VALU_DEP_4)
	v_dual_mov_b32 v16, v59 :: v_dual_add_nc_u32 v15, 52, v58
	v_add3_u32 v2, v2, v4, v3
	v_lshlrev_b64 v[17:18], 4, v[58:59]
	v_mov_b32_e32 v14, v59
	ds_load_b128 v[3:6], v0
	ds_load_b128 v[7:10], v0 offset:416
	v_lshlrev_b64 v[21:22], 4, v[15:16]
	v_lshlrev_b64 v[1:2], 4, v[1:2]
	v_dual_mov_b32 v26, v59 :: v_dual_add_nc_u32 v25, 0x4e, v58
	v_lshlrev_b64 v[19:20], 4, v[13:14]
	v_dual_mov_b32 v28, v59 :: v_dual_add_nc_u32 v27, 0x68, v58
	s_delay_alu instid0(VALU_DEP_4) | instskip(SKIP_2) | instid1(VALU_DEP_3)
	v_add_co_u32 v1, vcc_lo, s6, v1
	v_add_co_ci_u32_e32 v2, vcc_lo, s7, v2, vcc_lo
	v_lshlrev_b64 v[25:26], 4, v[25:26]
	v_add_co_u32 v1, vcc_lo, v1, v11
	s_delay_alu instid0(VALU_DEP_3) | instskip(SKIP_1) | instid1(VALU_DEP_3)
	v_add_co_ci_u32_e32 v2, vcc_lo, v2, v12, vcc_lo
	v_add_nc_u32_e32 v31, 0x138, v58
	v_add_co_u32 v23, vcc_lo, v1, v17
	s_delay_alu instid0(VALU_DEP_3)
	v_add_co_ci_u32_e32 v24, vcc_lo, v2, v18, vcc_lo
	ds_load_b128 v[11:14], v0 offset:832
	ds_load_b128 v[15:18], v0 offset:1248
	v_add_co_u32 v19, vcc_lo, v1, v19
	v_add_co_ci_u32_e32 v20, vcc_lo, v2, v20, vcc_lo
	v_add_co_u32 v21, vcc_lo, v1, v21
	v_add_co_ci_u32_e32 v22, vcc_lo, v2, v22, vcc_lo
	;; [unrolled: 2-line block ×3, first 2 shown]
	s_waitcnt lgkmcnt(3)
	global_store_b128 v[23:24], v[3:6], off
	s_waitcnt lgkmcnt(2)
	global_store_b128 v[19:20], v[7:10], off
	;; [unrolled: 2-line block ×4, first 2 shown]
	v_lshlrev_b64 v[3:4], 4, v[27:28]
	v_dual_mov_b32 v12, v59 :: v_dual_add_nc_u32 v11, 0x82, v58
	v_dual_mov_b32 v14, v59 :: v_dual_add_nc_u32 v13, 0x9c, v58
	;; [unrolled: 1-line block ×3, first 2 shown]
	s_delay_alu instid0(VALU_DEP_4)
	v_add_co_u32 v19, vcc_lo, v1, v3
	v_add_co_ci_u32_e32 v20, vcc_lo, v2, v4, vcc_lo
	ds_load_b128 v[3:6], v0 offset:1664
	ds_load_b128 v[7:10], v0 offset:2080
	v_lshlrev_b64 v[21:22], 4, v[11:12]
	v_lshlrev_b64 v[23:24], 4, v[13:14]
	ds_load_b128 v[11:14], v0 offset:2496
	ds_load_b128 v[15:18], v0 offset:2912
	v_lshlrev_b64 v[25:26], 4, v[25:26]
	v_dual_mov_b32 v32, v59 :: v_dual_add_nc_u32 v27, 0xd0, v58
	v_add_co_u32 v21, vcc_lo, v1, v21
	v_add_co_ci_u32_e32 v22, vcc_lo, v2, v22, vcc_lo
	v_add_co_u32 v23, vcc_lo, v1, v23
	v_add_co_ci_u32_e32 v24, vcc_lo, v2, v24, vcc_lo
	v_add_co_u32 v25, vcc_lo, v1, v25
	v_add_co_ci_u32_e32 v26, vcc_lo, v2, v26, vcc_lo
	s_waitcnt lgkmcnt(3)
	global_store_b128 v[19:20], v[3:6], off
	s_waitcnt lgkmcnt(2)
	global_store_b128 v[21:22], v[7:10], off
	;; [unrolled: 2-line block ×4, first 2 shown]
	v_dual_mov_b32 v12, v59 :: v_dual_add_nc_u32 v11, 0xea, v58
	v_mov_b32_e32 v14, v59
	v_lshlrev_b64 v[3:4], 4, v[27:28]
	v_dual_mov_b32 v20, v59 :: v_dual_add_nc_u32 v13, 0x104, v58
	s_delay_alu instid0(VALU_DEP_4)
	v_lshlrev_b64 v[11:12], 4, v[11:12]
	v_add_nc_u32_e32 v19, 0x11e, v58
	v_lshlrev_b64 v[31:32], 4, v[31:32]
	v_add_co_u32 v23, vcc_lo, v1, v3
	v_add_co_ci_u32_e32 v24, vcc_lo, v2, v4, vcc_lo
	v_add_co_u32 v25, vcc_lo, v1, v11
	ds_load_b128 v[3:6], v0 offset:3328
	ds_load_b128 v[7:10], v0 offset:3744
	v_add_co_ci_u32_e32 v26, vcc_lo, v2, v12, vcc_lo
	v_lshlrev_b64 v[27:28], 4, v[13:14]
	ds_load_b128 v[11:14], v0 offset:4160
	ds_load_b128 v[15:18], v0 offset:4576
	v_lshlrev_b64 v[29:30], 4, v[19:20]
	ds_load_b128 v[19:22], v0 offset:4992
	v_add_co_u32 v27, vcc_lo, v1, v27
	v_add_co_ci_u32_e32 v28, vcc_lo, v2, v28, vcc_lo
	v_add_co_u32 v29, vcc_lo, v1, v29
	v_add_co_ci_u32_e32 v30, vcc_lo, v2, v30, vcc_lo
	;; [unrolled: 2-line block ×3, first 2 shown]
	v_cmp_eq_u32_e32 vcc_lo, 25, v58
	s_waitcnt lgkmcnt(4)
	global_store_b128 v[23:24], v[3:6], off
	s_waitcnt lgkmcnt(3)
	global_store_b128 v[25:26], v[7:10], off
	s_waitcnt lgkmcnt(2)
	global_store_b128 v[27:28], v[11:14], off
	s_waitcnt lgkmcnt(1)
	global_store_b128 v[29:30], v[15:18], off
	s_waitcnt lgkmcnt(0)
	global_store_b128 v[31:32], v[19:22], off
	s_and_b32 exec_lo, exec_lo, vcc_lo
	s_cbranch_execz .LBB0_26
; %bb.25:
	ds_load_b128 v[3:6], v0 offset:5008
	v_add_co_u32 v0, vcc_lo, 0x1000, v1
	v_add_co_ci_u32_e32 v1, vcc_lo, 0, v2, vcc_lo
	s_waitcnt lgkmcnt(0)
	global_store_b128 v[0:1], v[3:6], off offset:1312
.LBB0_26:
	s_nop 0
	s_sendmsg sendmsg(MSG_DEALLOC_VGPRS)
	s_endpgm
	.section	.rodata,"a",@progbits
	.p2align	6, 0x0
	.amdhsa_kernel fft_rtc_back_len338_factors_13_2_13_wgs_52_tpt_26_halfLds_dp_op_CI_CI_unitstride_sbrr_R2C_dirReg
		.amdhsa_group_segment_fixed_size 0
		.amdhsa_private_segment_fixed_size 16
		.amdhsa_kernarg_size 104
		.amdhsa_user_sgpr_count 15
		.amdhsa_user_sgpr_dispatch_ptr 0
		.amdhsa_user_sgpr_queue_ptr 0
		.amdhsa_user_sgpr_kernarg_segment_ptr 1
		.amdhsa_user_sgpr_dispatch_id 0
		.amdhsa_user_sgpr_private_segment_size 0
		.amdhsa_wavefront_size32 1
		.amdhsa_uses_dynamic_stack 0
		.amdhsa_enable_private_segment 1
		.amdhsa_system_sgpr_workgroup_id_x 1
		.amdhsa_system_sgpr_workgroup_id_y 0
		.amdhsa_system_sgpr_workgroup_id_z 0
		.amdhsa_system_sgpr_workgroup_info 0
		.amdhsa_system_vgpr_workitem_id 0
		.amdhsa_next_free_vgpr 256
		.amdhsa_next_free_sgpr 46
		.amdhsa_reserve_vcc 1
		.amdhsa_float_round_mode_32 0
		.amdhsa_float_round_mode_16_64 0
		.amdhsa_float_denorm_mode_32 3
		.amdhsa_float_denorm_mode_16_64 3
		.amdhsa_dx10_clamp 1
		.amdhsa_ieee_mode 1
		.amdhsa_fp16_overflow 0
		.amdhsa_workgroup_processor_mode 1
		.amdhsa_memory_ordered 1
		.amdhsa_forward_progress 0
		.amdhsa_shared_vgpr_count 0
		.amdhsa_exception_fp_ieee_invalid_op 0
		.amdhsa_exception_fp_denorm_src 0
		.amdhsa_exception_fp_ieee_div_zero 0
		.amdhsa_exception_fp_ieee_overflow 0
		.amdhsa_exception_fp_ieee_underflow 0
		.amdhsa_exception_fp_ieee_inexact 0
		.amdhsa_exception_int_div_zero 0
	.end_amdhsa_kernel
	.text
.Lfunc_end0:
	.size	fft_rtc_back_len338_factors_13_2_13_wgs_52_tpt_26_halfLds_dp_op_CI_CI_unitstride_sbrr_R2C_dirReg, .Lfunc_end0-fft_rtc_back_len338_factors_13_2_13_wgs_52_tpt_26_halfLds_dp_op_CI_CI_unitstride_sbrr_R2C_dirReg
                                        ; -- End function
	.section	.AMDGPU.csdata,"",@progbits
; Kernel info:
; codeLenInByte = 14604
; NumSgprs: 48
; NumVgprs: 256
; ScratchSize: 16
; MemoryBound: 0
; FloatMode: 240
; IeeeMode: 1
; LDSByteSize: 0 bytes/workgroup (compile time only)
; SGPRBlocks: 5
; VGPRBlocks: 31
; NumSGPRsForWavesPerEU: 48
; NumVGPRsForWavesPerEU: 256
; Occupancy: 5
; WaveLimiterHint : 1
; COMPUTE_PGM_RSRC2:SCRATCH_EN: 1
; COMPUTE_PGM_RSRC2:USER_SGPR: 15
; COMPUTE_PGM_RSRC2:TRAP_HANDLER: 0
; COMPUTE_PGM_RSRC2:TGID_X_EN: 1
; COMPUTE_PGM_RSRC2:TGID_Y_EN: 0
; COMPUTE_PGM_RSRC2:TGID_Z_EN: 0
; COMPUTE_PGM_RSRC2:TIDIG_COMP_CNT: 0
	.text
	.p2alignl 7, 3214868480
	.fill 96, 4, 3214868480
	.type	__hip_cuid_2c6388cedc6e92af,@object ; @__hip_cuid_2c6388cedc6e92af
	.section	.bss,"aw",@nobits
	.globl	__hip_cuid_2c6388cedc6e92af
__hip_cuid_2c6388cedc6e92af:
	.byte	0                               ; 0x0
	.size	__hip_cuid_2c6388cedc6e92af, 1

	.ident	"AMD clang version 19.0.0git (https://github.com/RadeonOpenCompute/llvm-project roc-6.4.0 25133 c7fe45cf4b819c5991fe208aaa96edf142730f1d)"
	.section	".note.GNU-stack","",@progbits
	.addrsig
	.addrsig_sym __hip_cuid_2c6388cedc6e92af
	.amdgpu_metadata
---
amdhsa.kernels:
  - .args:
      - .actual_access:  read_only
        .address_space:  global
        .offset:         0
        .size:           8
        .value_kind:     global_buffer
      - .offset:         8
        .size:           8
        .value_kind:     by_value
      - .actual_access:  read_only
        .address_space:  global
        .offset:         16
        .size:           8
        .value_kind:     global_buffer
      - .actual_access:  read_only
        .address_space:  global
        .offset:         24
        .size:           8
        .value_kind:     global_buffer
      - .actual_access:  read_only
        .address_space:  global
        .offset:         32
        .size:           8
        .value_kind:     global_buffer
      - .offset:         40
        .size:           8
        .value_kind:     by_value
      - .actual_access:  read_only
        .address_space:  global
        .offset:         48
        .size:           8
        .value_kind:     global_buffer
      - .actual_access:  read_only
        .address_space:  global
        .offset:         56
        .size:           8
        .value_kind:     global_buffer
      - .offset:         64
        .size:           4
        .value_kind:     by_value
      - .actual_access:  read_only
        .address_space:  global
        .offset:         72
        .size:           8
        .value_kind:     global_buffer
      - .actual_access:  read_only
        .address_space:  global
        .offset:         80
        .size:           8
        .value_kind:     global_buffer
      - .actual_access:  read_only
        .address_space:  global
        .offset:         88
        .size:           8
        .value_kind:     global_buffer
      - .actual_access:  write_only
        .address_space:  global
        .offset:         96
        .size:           8
        .value_kind:     global_buffer
    .group_segment_fixed_size: 0
    .kernarg_segment_align: 8
    .kernarg_segment_size: 104
    .language:       OpenCL C
    .language_version:
      - 2
      - 0
    .max_flat_workgroup_size: 52
    .name:           fft_rtc_back_len338_factors_13_2_13_wgs_52_tpt_26_halfLds_dp_op_CI_CI_unitstride_sbrr_R2C_dirReg
    .private_segment_fixed_size: 16
    .sgpr_count:     48
    .sgpr_spill_count: 0
    .symbol:         fft_rtc_back_len338_factors_13_2_13_wgs_52_tpt_26_halfLds_dp_op_CI_CI_unitstride_sbrr_R2C_dirReg.kd
    .uniform_work_group_size: 1
    .uses_dynamic_stack: false
    .vgpr_count:     256
    .vgpr_spill_count: 3
    .wavefront_size: 32
    .workgroup_processor_mode: 1
amdhsa.target:   amdgcn-amd-amdhsa--gfx1100
amdhsa.version:
  - 1
  - 2
...

	.end_amdgpu_metadata
